;; amdgpu-corpus repo=ROCm/rocFFT kind=compiled arch=gfx1201 opt=O3
	.text
	.amdgcn_target "amdgcn-amd-amdhsa--gfx1201"
	.amdhsa_code_object_version 6
	.protected	fft_rtc_fwd_len663_factors_17_13_3_wgs_51_tpt_51_half_ip_CI_sbrr_dirReg ; -- Begin function fft_rtc_fwd_len663_factors_17_13_3_wgs_51_tpt_51_half_ip_CI_sbrr_dirReg
	.globl	fft_rtc_fwd_len663_factors_17_13_3_wgs_51_tpt_51_half_ip_CI_sbrr_dirReg
	.p2align	8
	.type	fft_rtc_fwd_len663_factors_17_13_3_wgs_51_tpt_51_half_ip_CI_sbrr_dirReg,@function
fft_rtc_fwd_len663_factors_17_13_3_wgs_51_tpt_51_half_ip_CI_sbrr_dirReg: ; @fft_rtc_fwd_len663_factors_17_13_3_wgs_51_tpt_51_half_ip_CI_sbrr_dirReg
; %bb.0:
	s_clause 0x2
	s_load_b64 s[12:13], s[0:1], 0x18
	s_load_b128 s[4:7], s[0:1], 0x0
	s_load_b64 s[10:11], s[0:1], 0x50
	v_mul_u32_u24_e32 v1, 0x506, v0
	v_mov_b32_e32 v3, 0
	s_delay_alu instid0(VALU_DEP_2) | instskip(NEXT) | instid1(VALU_DEP_1)
	v_lshrrev_b32_e32 v1, 16, v1
	v_add_nc_u32_e32 v5, ttmp9, v1
	v_mov_b32_e32 v1, 0
	v_mov_b32_e32 v2, 0
	;; [unrolled: 1-line block ×3, first 2 shown]
	s_wait_kmcnt 0x0
	s_load_b64 s[8:9], s[12:13], 0x0
	v_cmp_lt_u64_e64 s2, s[6:7], 2
	s_delay_alu instid0(VALU_DEP_1)
	s_and_b32 vcc_lo, exec_lo, s2
	s_cbranch_vccnz .LBB0_8
; %bb.1:
	s_load_b64 s[2:3], s[0:1], 0x10
	v_mov_b32_e32 v1, 0
	v_mov_b32_e32 v2, 0
	s_add_nc_u64 s[14:15], s[12:13], 8
	s_mov_b64 s[16:17], 1
	s_wait_kmcnt 0x0
	s_add_nc_u64 s[18:19], s[2:3], 8
	s_mov_b32 s3, 0
.LBB0_2:                                ; =>This Inner Loop Header: Depth=1
	s_load_b64 s[20:21], s[18:19], 0x0
                                        ; implicit-def: $vgpr7_vgpr8
	s_mov_b32 s2, exec_lo
	s_wait_kmcnt 0x0
	v_or_b32_e32 v4, s21, v6
	s_delay_alu instid0(VALU_DEP_1)
	v_cmpx_ne_u64_e32 0, v[3:4]
	s_wait_alu 0xfffe
	s_xor_b32 s22, exec_lo, s2
	s_cbranch_execz .LBB0_4
; %bb.3:                                ;   in Loop: Header=BB0_2 Depth=1
	s_cvt_f32_u32 s2, s20
	s_cvt_f32_u32 s23, s21
	s_sub_nc_u64 s[26:27], 0, s[20:21]
	s_wait_alu 0xfffe
	s_delay_alu instid0(SALU_CYCLE_1) | instskip(SKIP_1) | instid1(SALU_CYCLE_2)
	s_fmamk_f32 s2, s23, 0x4f800000, s2
	s_wait_alu 0xfffe
	v_s_rcp_f32 s2, s2
	s_delay_alu instid0(TRANS32_DEP_1) | instskip(SKIP_1) | instid1(SALU_CYCLE_2)
	s_mul_f32 s2, s2, 0x5f7ffffc
	s_wait_alu 0xfffe
	s_mul_f32 s23, s2, 0x2f800000
	s_wait_alu 0xfffe
	s_delay_alu instid0(SALU_CYCLE_2) | instskip(SKIP_1) | instid1(SALU_CYCLE_2)
	s_trunc_f32 s23, s23
	s_wait_alu 0xfffe
	s_fmamk_f32 s2, s23, 0xcf800000, s2
	s_cvt_u32_f32 s25, s23
	s_wait_alu 0xfffe
	s_delay_alu instid0(SALU_CYCLE_1) | instskip(SKIP_1) | instid1(SALU_CYCLE_2)
	s_cvt_u32_f32 s24, s2
	s_wait_alu 0xfffe
	s_mul_u64 s[28:29], s[26:27], s[24:25]
	s_wait_alu 0xfffe
	s_mul_hi_u32 s31, s24, s29
	s_mul_i32 s30, s24, s29
	s_mul_hi_u32 s2, s24, s28
	s_mul_i32 s33, s25, s28
	s_wait_alu 0xfffe
	s_add_nc_u64 s[30:31], s[2:3], s[30:31]
	s_mul_hi_u32 s23, s25, s28
	s_mul_hi_u32 s34, s25, s29
	s_add_co_u32 s2, s30, s33
	s_wait_alu 0xfffe
	s_add_co_ci_u32 s2, s31, s23
	s_mul_i32 s28, s25, s29
	s_add_co_ci_u32 s29, s34, 0
	s_wait_alu 0xfffe
	s_add_nc_u64 s[28:29], s[2:3], s[28:29]
	s_wait_alu 0xfffe
	v_add_co_u32 v4, s2, s24, s28
	s_delay_alu instid0(VALU_DEP_1) | instskip(SKIP_1) | instid1(VALU_DEP_1)
	s_cmp_lg_u32 s2, 0
	s_add_co_ci_u32 s25, s25, s29
	v_readfirstlane_b32 s24, v4
	s_wait_alu 0xfffe
	s_delay_alu instid0(VALU_DEP_1)
	s_mul_u64 s[26:27], s[26:27], s[24:25]
	s_wait_alu 0xfffe
	s_mul_hi_u32 s29, s24, s27
	s_mul_i32 s28, s24, s27
	s_mul_hi_u32 s2, s24, s26
	s_mul_i32 s30, s25, s26
	s_wait_alu 0xfffe
	s_add_nc_u64 s[28:29], s[2:3], s[28:29]
	s_mul_hi_u32 s23, s25, s26
	s_mul_hi_u32 s24, s25, s27
	s_wait_alu 0xfffe
	s_add_co_u32 s2, s28, s30
	s_add_co_ci_u32 s2, s29, s23
	s_mul_i32 s26, s25, s27
	s_add_co_ci_u32 s27, s24, 0
	s_wait_alu 0xfffe
	s_add_nc_u64 s[26:27], s[2:3], s[26:27]
	s_wait_alu 0xfffe
	v_add_co_u32 v4, s2, v4, s26
	s_delay_alu instid0(VALU_DEP_1) | instskip(SKIP_1) | instid1(VALU_DEP_1)
	s_cmp_lg_u32 s2, 0
	s_add_co_ci_u32 s2, s25, s27
	v_mul_hi_u32 v13, v5, v4
	s_wait_alu 0xfffe
	v_mad_co_u64_u32 v[7:8], null, v5, s2, 0
	v_mad_co_u64_u32 v[9:10], null, v6, v4, 0
	;; [unrolled: 1-line block ×3, first 2 shown]
	s_delay_alu instid0(VALU_DEP_3) | instskip(SKIP_1) | instid1(VALU_DEP_4)
	v_add_co_u32 v4, vcc_lo, v13, v7
	s_wait_alu 0xfffd
	v_add_co_ci_u32_e32 v7, vcc_lo, 0, v8, vcc_lo
	s_delay_alu instid0(VALU_DEP_2) | instskip(SKIP_1) | instid1(VALU_DEP_2)
	v_add_co_u32 v4, vcc_lo, v4, v9
	s_wait_alu 0xfffd
	v_add_co_ci_u32_e32 v4, vcc_lo, v7, v10, vcc_lo
	s_wait_alu 0xfffd
	v_add_co_ci_u32_e32 v7, vcc_lo, 0, v12, vcc_lo
	s_delay_alu instid0(VALU_DEP_2) | instskip(SKIP_1) | instid1(VALU_DEP_2)
	v_add_co_u32 v4, vcc_lo, v4, v11
	s_wait_alu 0xfffd
	v_add_co_ci_u32_e32 v9, vcc_lo, 0, v7, vcc_lo
	s_delay_alu instid0(VALU_DEP_2) | instskip(SKIP_1) | instid1(VALU_DEP_3)
	v_mul_lo_u32 v10, s21, v4
	v_mad_co_u64_u32 v[7:8], null, s20, v4, 0
	v_mul_lo_u32 v11, s20, v9
	s_delay_alu instid0(VALU_DEP_2) | instskip(NEXT) | instid1(VALU_DEP_2)
	v_sub_co_u32 v7, vcc_lo, v5, v7
	v_add3_u32 v8, v8, v11, v10
	s_delay_alu instid0(VALU_DEP_1) | instskip(SKIP_1) | instid1(VALU_DEP_1)
	v_sub_nc_u32_e32 v10, v6, v8
	s_wait_alu 0xfffd
	v_subrev_co_ci_u32_e64 v10, s2, s21, v10, vcc_lo
	v_add_co_u32 v11, s2, v4, 2
	s_wait_alu 0xf1ff
	v_add_co_ci_u32_e64 v12, s2, 0, v9, s2
	v_sub_co_u32 v13, s2, v7, s20
	v_sub_co_ci_u32_e32 v8, vcc_lo, v6, v8, vcc_lo
	s_wait_alu 0xf1ff
	v_subrev_co_ci_u32_e64 v10, s2, 0, v10, s2
	s_delay_alu instid0(VALU_DEP_3) | instskip(NEXT) | instid1(VALU_DEP_3)
	v_cmp_le_u32_e32 vcc_lo, s20, v13
	v_cmp_eq_u32_e64 s2, s21, v8
	s_wait_alu 0xfffd
	v_cndmask_b32_e64 v13, 0, -1, vcc_lo
	v_cmp_le_u32_e32 vcc_lo, s21, v10
	s_wait_alu 0xfffd
	v_cndmask_b32_e64 v14, 0, -1, vcc_lo
	v_cmp_le_u32_e32 vcc_lo, s20, v7
	;; [unrolled: 3-line block ×3, first 2 shown]
	s_wait_alu 0xfffd
	v_cndmask_b32_e64 v15, 0, -1, vcc_lo
	v_cmp_eq_u32_e32 vcc_lo, s21, v10
	s_wait_alu 0xf1ff
	s_delay_alu instid0(VALU_DEP_2)
	v_cndmask_b32_e64 v7, v15, v7, s2
	s_wait_alu 0xfffd
	v_cndmask_b32_e32 v10, v14, v13, vcc_lo
	v_add_co_u32 v13, vcc_lo, v4, 1
	s_wait_alu 0xfffd
	v_add_co_ci_u32_e32 v14, vcc_lo, 0, v9, vcc_lo
	s_delay_alu instid0(VALU_DEP_3) | instskip(SKIP_2) | instid1(VALU_DEP_3)
	v_cmp_ne_u32_e32 vcc_lo, 0, v10
	s_wait_alu 0xfffd
	v_cndmask_b32_e32 v10, v13, v11, vcc_lo
	v_cndmask_b32_e32 v8, v14, v12, vcc_lo
	v_cmp_ne_u32_e32 vcc_lo, 0, v7
	s_wait_alu 0xfffd
	s_delay_alu instid0(VALU_DEP_2)
	v_dual_cndmask_b32 v7, v4, v10 :: v_dual_cndmask_b32 v8, v9, v8
.LBB0_4:                                ;   in Loop: Header=BB0_2 Depth=1
	s_wait_alu 0xfffe
	s_and_not1_saveexec_b32 s2, s22
	s_cbranch_execz .LBB0_6
; %bb.5:                                ;   in Loop: Header=BB0_2 Depth=1
	v_cvt_f32_u32_e32 v4, s20
	s_sub_co_i32 s22, 0, s20
	s_delay_alu instid0(VALU_DEP_1) | instskip(NEXT) | instid1(TRANS32_DEP_1)
	v_rcp_iflag_f32_e32 v4, v4
	v_mul_f32_e32 v4, 0x4f7ffffe, v4
	s_delay_alu instid0(VALU_DEP_1) | instskip(SKIP_1) | instid1(VALU_DEP_1)
	v_cvt_u32_f32_e32 v4, v4
	s_wait_alu 0xfffe
	v_mul_lo_u32 v7, s22, v4
	s_delay_alu instid0(VALU_DEP_1) | instskip(NEXT) | instid1(VALU_DEP_1)
	v_mul_hi_u32 v7, v4, v7
	v_add_nc_u32_e32 v4, v4, v7
	s_delay_alu instid0(VALU_DEP_1) | instskip(NEXT) | instid1(VALU_DEP_1)
	v_mul_hi_u32 v4, v5, v4
	v_mul_lo_u32 v7, v4, s20
	v_add_nc_u32_e32 v8, 1, v4
	s_delay_alu instid0(VALU_DEP_2) | instskip(NEXT) | instid1(VALU_DEP_1)
	v_sub_nc_u32_e32 v7, v5, v7
	v_subrev_nc_u32_e32 v9, s20, v7
	v_cmp_le_u32_e32 vcc_lo, s20, v7
	s_wait_alu 0xfffd
	s_delay_alu instid0(VALU_DEP_2) | instskip(NEXT) | instid1(VALU_DEP_1)
	v_dual_cndmask_b32 v7, v7, v9 :: v_dual_cndmask_b32 v4, v4, v8
	v_cmp_le_u32_e32 vcc_lo, s20, v7
	s_delay_alu instid0(VALU_DEP_2) | instskip(SKIP_1) | instid1(VALU_DEP_1)
	v_add_nc_u32_e32 v8, 1, v4
	s_wait_alu 0xfffd
	v_dual_cndmask_b32 v7, v4, v8 :: v_dual_mov_b32 v8, v3
.LBB0_6:                                ;   in Loop: Header=BB0_2 Depth=1
	s_wait_alu 0xfffe
	s_or_b32 exec_lo, exec_lo, s2
	s_load_b64 s[22:23], s[14:15], 0x0
	s_delay_alu instid0(VALU_DEP_1)
	v_mul_lo_u32 v4, v8, s20
	v_mul_lo_u32 v11, v7, s21
	v_mad_co_u64_u32 v[9:10], null, v7, s20, 0
	s_add_nc_u64 s[16:17], s[16:17], 1
	s_add_nc_u64 s[14:15], s[14:15], 8
	s_wait_alu 0xfffe
	v_cmp_ge_u64_e64 s2, s[16:17], s[6:7]
	s_add_nc_u64 s[18:19], s[18:19], 8
	s_delay_alu instid0(VALU_DEP_2) | instskip(NEXT) | instid1(VALU_DEP_3)
	v_add3_u32 v4, v10, v11, v4
	v_sub_co_u32 v5, vcc_lo, v5, v9
	s_wait_alu 0xfffd
	s_delay_alu instid0(VALU_DEP_2) | instskip(SKIP_3) | instid1(VALU_DEP_2)
	v_sub_co_ci_u32_e32 v4, vcc_lo, v6, v4, vcc_lo
	s_and_b32 vcc_lo, exec_lo, s2
	s_wait_kmcnt 0x0
	v_mul_lo_u32 v6, s23, v5
	v_mul_lo_u32 v4, s22, v4
	v_mad_co_u64_u32 v[1:2], null, s22, v5, v[1:2]
	s_delay_alu instid0(VALU_DEP_1)
	v_add3_u32 v2, v6, v2, v4
	s_wait_alu 0xfffe
	s_cbranch_vccnz .LBB0_9
; %bb.7:                                ;   in Loop: Header=BB0_2 Depth=1
	v_dual_mov_b32 v5, v7 :: v_dual_mov_b32 v6, v8
	s_branch .LBB0_2
.LBB0_8:
	v_dual_mov_b32 v8, v6 :: v_dual_mov_b32 v7, v5
.LBB0_9:
	s_lshl_b64 s[2:3], s[6:7], 3
	v_mul_hi_u32 v3, 0x5050506, v0
	s_wait_alu 0xfffe
	s_add_nc_u64 s[2:3], s[12:13], s[2:3]
	v_mov_b32_e32 v12, 0
	s_load_b64 s[2:3], s[2:3], 0x0
	s_load_b64 s[0:1], s[0:1], 0x20
                                        ; implicit-def: $vgpr39
                                        ; implicit-def: $vgpr9
                                        ; implicit-def: $vgpr38
                                        ; implicit-def: $vgpr37
                                        ; implicit-def: $vgpr35
                                        ; implicit-def: $vgpr6
                                        ; implicit-def: $vgpr33
                                        ; implicit-def: $vgpr32
                                        ; implicit-def: $vgpr31
                                        ; implicit-def: $vgpr30
                                        ; implicit-def: $vgpr27
                                        ; implicit-def: $vgpr14
                                        ; implicit-def: $vgpr10
                                        ; implicit-def: $vgpr16
                                        ; implicit-def: $vgpr11
                                        ; implicit-def: $vgpr22
                                        ; implicit-def: $vgpr13
                                        ; implicit-def: $vgpr24
                                        ; implicit-def: $vgpr15
                                        ; implicit-def: $vgpr25
                                        ; implicit-def: $vgpr17
                                        ; implicit-def: $vgpr26
                                        ; implicit-def: $vgpr23
                                        ; implicit-def: $vgpr34
                                        ; implicit-def: $vgpr28
                                        ; implicit-def: $vgpr36
                                        ; implicit-def: $vgpr29
	s_delay_alu instid0(VALU_DEP_2) | instskip(NEXT) | instid1(VALU_DEP_1)
	v_mul_u32_u24_e32 v3, 51, v3
	v_sub_nc_u32_e32 v18, v0, v3
	s_wait_kmcnt 0x0
	v_mul_lo_u32 v4, s2, v8
	v_mul_lo_u32 v5, s3, v7
	v_mad_co_u64_u32 v[1:2], null, s2, v7, v[1:2]
	v_cmp_gt_u64_e32 vcc_lo, s[0:1], v[7:8]
	v_cmp_gt_u32_e64 s0, 39, v18
                                        ; implicit-def: $vgpr8
                                        ; implicit-def: $vgpr7
	s_delay_alu instid0(VALU_DEP_1) | instskip(NEXT) | instid1(VALU_DEP_3)
	s_and_b32 s1, vcc_lo, s0
	v_add3_u32 v2, v5, v2, v4
                                        ; implicit-def: $vgpr5
                                        ; implicit-def: $vgpr4
	s_delay_alu instid0(VALU_DEP_1)
	v_lshlrev_b64_e32 v[0:1], 2, v[1:2]
                                        ; implicit-def: $vgpr2
	s_wait_alu 0xfffe
	s_and_saveexec_b32 s2, s1
	s_cbranch_execz .LBB0_11
; %bb.10:
	v_add_nc_u32_e32 v9, 39, v18
	v_mad_co_u64_u32 v[2:3], null, s8, v18, 0
	v_add_co_u32 v35, s1, s10, v0
	s_delay_alu instid0(VALU_DEP_3)
	v_mad_co_u64_u32 v[4:5], null, s8, v9, 0
	s_wait_alu 0xf1ff
	v_add_co_ci_u32_e64 v36, s1, s11, v1, s1
	v_add_nc_u32_e32 v29, 0x15f, v18
	v_add_nc_u32_e32 v31, 0x222, v18
	;; [unrolled: 1-line block ×3, first 2 shown]
	v_mad_co_u64_u32 v[6:7], null, s9, v18, v[3:4]
	s_delay_alu instid0(VALU_DEP_1) | instskip(SKIP_2) | instid1(VALU_DEP_3)
	v_dual_mov_b32 v3, v6 :: v_dual_add_nc_u32 v12, 0x4e, v18
	v_mad_co_u64_u32 v[9:10], null, s9, v9, v[5:6]
	v_add_nc_u32_e32 v14, 0x75, v18
	v_mad_co_u64_u32 v[7:8], null, s8, v12, 0
	s_delay_alu instid0(VALU_DEP_4) | instskip(NEXT) | instid1(VALU_DEP_4)
	v_lshlrev_b64_e32 v[2:3], 2, v[2:3]
	v_mov_b32_e32 v5, v9
	s_delay_alu instid0(VALU_DEP_4) | instskip(NEXT) | instid1(VALU_DEP_4)
	v_mad_co_u64_u32 v[10:11], null, s8, v14, 0
	v_dual_mov_b32 v6, v8 :: v_dual_add_nc_u32 v15, 0x9c, v18
	s_delay_alu instid0(VALU_DEP_3) | instskip(SKIP_1) | instid1(VALU_DEP_3)
	v_lshlrev_b64_e32 v[4:5], 2, v[4:5]
	v_add_co_u32 v19, s1, v35, v2
	v_mad_co_u64_u32 v[8:9], null, s9, v12, v[6:7]
	v_mov_b32_e32 v2, v11
	v_mad_co_u64_u32 v[12:13], null, s8, v15, 0
	v_add_nc_u32_e32 v16, 0xc3, v18
	s_wait_alu 0xf1ff
	v_add_co_ci_u32_e64 v20, s1, v36, v3, s1
	v_mad_co_u64_u32 v[2:3], null, s9, v14, v[2:3]
	v_add_co_u32 v3, s1, v35, v4
	s_wait_alu 0xf1ff
	v_add_co_ci_u32_e64 v4, s1, v36, v5, s1
	v_lshlrev_b64_e32 v[5:6], 2, v[7:8]
	v_mov_b32_e32 v7, v13
	v_mad_co_u64_u32 v[8:9], null, s8, v16, 0
	v_mov_b32_e32 v11, v2
	s_delay_alu instid0(VALU_DEP_4) | instskip(SKIP_2) | instid1(VALU_DEP_4)
	v_add_co_u32 v5, s1, v35, v5
	s_wait_alu 0xf1ff
	v_add_co_ci_u32_e64 v6, s1, v36, v6, s1
	v_mov_b32_e32 v2, v9
	v_mad_co_u64_u32 v[13:14], null, s9, v15, v[7:8]
	v_add_nc_u32_e32 v7, 0xea, v18
	v_lshlrev_b64_e32 v[10:11], 2, v[10:11]
	s_delay_alu instid0(VALU_DEP_4) | instskip(SKIP_1) | instid1(VALU_DEP_4)
	v_mad_co_u64_u32 v[16:17], null, s9, v16, v[2:3]
	v_add_nc_u32_e32 v17, 0x111, v18
	v_mad_co_u64_u32 v[14:15], null, s8, v7, 0
	v_lshlrev_b64_e32 v[12:13], 2, v[12:13]
	v_add_co_u32 v10, s1, v35, v10
	s_delay_alu instid0(VALU_DEP_4) | instskip(NEXT) | instid1(VALU_DEP_4)
	v_mad_co_u64_u32 v[21:22], null, s8, v17, 0
	v_dual_mov_b32 v9, v16 :: v_dual_mov_b32 v2, v15
	s_wait_alu 0xf1ff
	v_add_co_ci_u32_e64 v11, s1, v36, v11, s1
	v_add_co_u32 v12, s1, v35, v12
	s_delay_alu instid0(VALU_DEP_3) | instskip(SKIP_3) | instid1(VALU_DEP_2)
	v_mad_co_u64_u32 v[15:16], null, s9, v7, v[2:3]
	v_mov_b32_e32 v2, v22
	s_wait_alu 0xf1ff
	v_add_co_ci_u32_e64 v13, s1, v36, v13, s1
	v_mad_co_u64_u32 v[16:17], null, s9, v17, v[2:3]
	s_delay_alu instid0(VALU_DEP_1) | instskip(SKIP_2) | instid1(VALU_DEP_3)
	v_mov_b32_e32 v22, v16
	v_lshlrev_b64_e32 v[7:8], 2, v[8:9]
	v_add_nc_u32_e32 v9, 0x138, v18
	v_lshlrev_b64_e32 v[16:17], 2, v[21:22]
	s_delay_alu instid0(VALU_DEP_2) | instskip(NEXT) | instid1(VALU_DEP_4)
	v_mad_co_u64_u32 v[23:24], null, s8, v9, 0
	v_add_co_u32 v25, s1, v35, v7
	s_wait_alu 0xf1ff
	v_add_co_ci_u32_e64 v26, s1, v36, v8, s1
	v_lshlrev_b64_e32 v[7:8], 2, v[14:15]
	v_mad_co_u64_u32 v[14:15], null, s8, v29, 0
	v_mov_b32_e32 v2, v24
	s_delay_alu instid0(VALU_DEP_3) | instskip(NEXT) | instid1(VALU_DEP_2)
	v_add_co_u32 v27, s1, v35, v7
	v_mad_co_u64_u32 v[21:22], null, s9, v9, v[2:3]
	s_delay_alu instid0(VALU_DEP_4)
	v_mov_b32_e32 v2, v15
	s_wait_alu 0xf1ff
	v_add_co_ci_u32_e64 v28, s1, v36, v8, s1
	v_add_co_u32 v15, s1, v35, v16
	s_wait_alu 0xf1ff
	v_add_co_ci_u32_e64 v16, s1, v36, v17, s1
	v_dual_mov_b32 v24, v21 :: v_dual_add_nc_u32 v17, 0x186, v18
	v_mad_co_u64_u32 v[21:22], null, s9, v29, v[2:3]
	s_clause 0x6
	global_load_b32 v9, v[3:4], off
	global_load_b32 v8, v[5:6], off
	;; [unrolled: 1-line block ×7, first 2 shown]
	v_mad_co_u64_u32 v[29:30], null, s8, v17, 0
	v_add_nc_u32_e32 v22, 0x1ad, v18
	v_add_nc_u32_e32 v25, 0x1d4, v18
	v_add_nc_u32_e32 v28, 0x1fb, v18
	v_lshlrev_b64_e32 v[10:11], 2, v[23:24]
	v_mov_b32_e32 v3, v30
	v_mad_co_u64_u32 v[12:13], null, s8, v22, 0
	s_delay_alu instid0(VALU_DEP_3) | instskip(SKIP_1) | instid1(VALU_DEP_4)
	v_add_co_u32 v10, s1, v35, v10
	s_wait_alu 0xf1ff
	v_add_co_ci_u32_e64 v11, s1, v36, v11, s1
	s_wait_loadcnt 0x6
	v_lshrrev_b32_e32 v39, 16, v9
	s_wait_loadcnt 0x5
	v_lshrrev_b32_e32 v38, 16, v8
	;; [unrolled: 2-line block ×3, first 2 shown]
	s_wait_loadcnt 0x1
	v_mad_co_u64_u32 v[16:17], null, s9, v17, v[3:4]
	v_mov_b32_e32 v15, v21
	s_delay_alu instid0(VALU_DEP_2) | instskip(NEXT) | instid1(VALU_DEP_2)
	v_dual_mov_b32 v3, v13 :: v_dual_mov_b32 v30, v16
	v_lshlrev_b64_e32 v[13:14], 2, v[14:15]
	s_delay_alu instid0(VALU_DEP_2) | instskip(SKIP_1) | instid1(VALU_DEP_4)
	v_mad_co_u64_u32 v[15:16], null, s9, v22, v[3:4]
	v_mad_co_u64_u32 v[16:17], null, s8, v25, 0
	v_lshlrev_b64_e32 v[23:24], 2, v[29:30]
	s_delay_alu instid0(VALU_DEP_4)
	v_add_co_u32 v21, s1, v35, v13
	s_wait_alu 0xf1ff
	v_add_co_ci_u32_e64 v22, s1, v36, v14, s1
	v_mov_b32_e32 v13, v15
	v_mov_b32_e32 v3, v17
	v_mad_co_u64_u32 v[14:15], null, s8, v28, 0
	v_add_co_u32 v23, s1, v35, v23
	s_delay_alu instid0(VALU_DEP_3) | instskip(SKIP_1) | instid1(VALU_DEP_4)
	v_mad_co_u64_u32 v[25:26], null, s9, v25, v[3:4]
	v_mad_co_u64_u32 v[26:27], null, s8, v31, 0
	v_mov_b32_e32 v3, v15
	v_lshlrev_b64_e32 v[12:13], 2, v[12:13]
	s_wait_alu 0xf1ff
	v_add_co_ci_u32_e64 v24, s1, v36, v24, s1
	v_mov_b32_e32 v17, v25
	v_add_nc_u32_e32 v25, 0x249, v18
	v_mad_co_u64_u32 v[28:29], null, s9, v28, v[3:4]
	v_mov_b32_e32 v3, v27
	s_delay_alu instid0(VALU_DEP_4) | instskip(NEXT) | instid1(VALU_DEP_4)
	v_lshlrev_b64_e32 v[16:17], 2, v[16:17]
	v_mad_co_u64_u32 v[29:30], null, s8, v25, 0
	v_add_co_u32 v12, s1, v35, v12
	s_delay_alu instid0(VALU_DEP_4) | instskip(SKIP_1) | instid1(VALU_DEP_4)
	v_mad_co_u64_u32 v[31:32], null, s9, v31, v[3:4]
	v_mad_co_u64_u32 v[32:33], null, s8, v34, 0
	v_mov_b32_e32 v3, v30
	v_mov_b32_e32 v15, v28
	s_wait_alu 0xf1ff
	v_add_co_ci_u32_e64 v13, s1, v36, v13, s1
	v_mov_b32_e32 v27, v31
	v_mad_co_u64_u32 v[30:31], null, s9, v25, v[3:4]
	v_mov_b32_e32 v3, v33
	v_lshlrev_b64_e32 v[14:15], 2, v[14:15]
	v_add_co_u32 v16, s1, v35, v16
	v_lshlrev_b64_e32 v[25:26], 2, v[26:27]
	s_delay_alu instid0(VALU_DEP_4)
	v_mad_co_u64_u32 v[33:34], null, s9, v34, v[3:4]
	s_wait_alu 0xf1ff
	v_add_co_ci_u32_e64 v17, s1, v36, v17, s1
	v_add_co_u32 v14, s1, v35, v14
	v_lshlrev_b64_e32 v[27:28], 2, v[29:30]
	s_wait_alu 0xf1ff
	v_add_co_ci_u32_e64 v15, s1, v36, v15, s1
	v_add_co_u32 v25, s1, v35, v25
	v_lshlrev_b64_e32 v[29:30], 2, v[32:33]
	s_wait_alu 0xf1ff
	v_add_co_ci_u32_e64 v26, s1, v36, v26, s1
	v_add_co_u32 v31, s1, v35, v27
	s_wait_alu 0xf1ff
	v_add_co_ci_u32_e64 v32, s1, v36, v28, s1
	v_add_co_u32 v33, s1, v35, v29
	s_wait_alu 0xf1ff
	v_add_co_ci_u32_e64 v34, s1, v36, v30, s1
	s_clause 0x9
	global_load_b32 v27, v[10:11], off
	global_load_b32 v29, v[21:22], off
	;; [unrolled: 1-line block ×10, first 2 shown]
	v_lshrrev_b32_e32 v35, 16, v6
	v_lshrrev_b32_e32 v33, 16, v5
	;; [unrolled: 1-line block ×3, first 2 shown]
	s_wait_loadcnt 0xa
	v_lshrrev_b32_e32 v31, 16, v2
	s_wait_loadcnt 0x9
	v_lshrrev_b32_e32 v30, 16, v27
	;; [unrolled: 2-line block ×10, first 2 shown]
.LBB0_11:
	s_wait_alu 0xfffe
	s_or_b32 exec_lo, exec_lo, s2
	v_add_f16_e32 v61, v9, v10
	s_delay_alu instid0(VALU_DEP_2)
	v_sub_f16_e32 v40, v39, v14
	v_add_f16_e32 v63, v8, v11
	v_sub_f16_e32 v56, v9, v10
	v_sub_f16_e32 v41, v38, v16
	v_mul_f16_e32 v82, 0x3722, v61
	v_add_f16_e32 v46, v39, v14
	v_mul_f16_e32 v86, 0xb8d2, v63
	v_mul_f16_e32 v84, 0xbb29, v56
	;; [unrolled: 1-line block ×3, first 2 shown]
	v_fmamk_f16 v3, v40, 0xbb29, v82
	v_sub_f16_e32 v58, v8, v11
	v_fmamk_f16 v42, v41, 0xba62, v86
	v_add_f16_e32 v66, v7, v13
	s_wait_loadcnt 0x0
	v_lshrrev_b32_e32 v43, 16, v12
	v_add_f16_e32 v3, v12, v3
	v_fma_f16 v19, v46, 0x3722, -v84
	v_mul_f16_e32 v80, 0xbbf7, v56
	v_fmamk_f16 v20, v40, 0xbbf7, v79
	v_add_f16_e32 v45, v38, v16
	v_mul_f16_e32 v85, 0xba62, v58
	v_add_f16_e32 v3, v3, v42
	v_mul_f16_e32 v81, 0xbbdd, v63
	v_sub_f16_e32 v42, v37, v22
	v_mul_f16_e32 v89, 0xbbdd, v66
	v_sub_f16_e32 v59, v7, v13
	v_add_f16_e32 v19, v43, v19
	v_fma_f16 v21, v46, 0x2de8, -v80
	v_add_f16_e32 v20, v12, v20
	v_fma_f16 v44, v45, 0xb8d2, -v85
	v_mul_f16_e32 v83, 0xb1e1, v58
	v_fmamk_f16 v47, v41, 0xb1e1, v81
	v_add_f16_e32 v50, v37, v22
	v_fmamk_f16 v49, v42, 0x31e1, v89
	v_mul_f16_e32 v87, 0x31e1, v59
	v_add_f16_e32 v68, v6, v15
	v_sub_f16_e32 v60, v6, v15
	v_add_f16_e32 v21, v43, v21
	v_fma_f16 v48, v45, 0xbbdd, -v83
	v_add_f16_e32 v19, v19, v44
	v_add_f16_e32 v20, v20, v47
	;; [unrolled: 1-line block ×3, first 2 shown]
	v_fma_f16 v47, v50, 0xbbdd, -v87
	v_mul_f16_e32 v92, 0xb461, v66
	v_mul_f16_e32 v94, 0x3bb2, v59
	v_sub_f16_e32 v44, v35, v24
	v_mul_f16_e32 v91, 0xb461, v68
	v_add_f16_e32 v49, v35, v24
	v_mul_f16_e32 v88, 0x3bb2, v60
	v_add_f16_e32 v21, v21, v48
	v_fmamk_f16 v48, v42, 0x3bb2, v92
	v_fma_f16 v51, v50, 0xb461, -v94
	v_fmamk_f16 v52, v44, 0x3bb2, v91
	v_add_f16_e32 v19, v19, v47
	v_fma_f16 v47, v49, 0xb461, -v88
	v_mul_f16_e32 v105, 0x3b76, v68
	v_add_f16_e32 v70, v5, v17
	v_mul_f16_e32 v111, 0x35c8, v60
	v_sub_f16_e32 v62, v5, v17
	v_add_f16_e32 v20, v20, v48
	v_add_f16_e32 v21, v21, v51
	;; [unrolled: 1-line block ×4, first 2 shown]
	v_fmamk_f16 v48, v44, 0x35c8, v105
	v_sub_f16_e32 v47, v33, v25
	v_add_f16_e32 v51, v33, v25
	v_mul_f16_e32 v90, 0x3964, v62
	v_fma_f16 v52, v49, 0x3b76, -v111
	v_mul_f16_e64 v148, 0x3722, v70
	v_mul_f16_e32 v93, 0x39e9, v70
	v_add_f16_e32 v20, v20, v48
	v_fma_f16 v48, v51, 0x39e9, -v90
	v_add_f16_e32 v21, v21, v52
	v_fma_f16 v52, 0xbb29, v47, v148
	v_mul_f16_e64 v152, 0xbb29, v62
	v_add_f16_e32 v71, v4, v23
	v_sub_f16_e32 v64, v4, v23
	v_fmamk_f16 v53, v47, 0x3964, v93
	v_add_f16_e32 v19, v19, v48
	v_add_f16_e32 v20, v20, v52
	v_fma_f16 v48, v51, 0x3722, -v152
	v_sub_f16_e32 v52, v32, v26
	v_mul_f16_e32 v95, 0x3b76, v71
	v_add_f16_e32 v54, v32, v26
	v_mul_f16_e64 v142, 0xb5c8, v64
	v_add_f16_e32 v3, v3, v53
	v_add_f16_e32 v21, v21, v48
	v_mul_f16_e64 v157, 0xbacd, v71
	v_fmamk_f16 v48, v52, 0xb5c8, v95
	v_add_f16_e32 v72, v2, v28
	v_fma_f16 v55, v54, 0x3b76, -v142
	v_mul_f16_e64 v159, 0xb836, v64
	v_sub_f16_e32 v67, v2, v28
	v_fma_f16 v57, 0xb836, v52, v157
	v_sub_f16_e32 v53, v31, v34
	v_mul_f16_e32 v100, 0x2de8, v72
	v_add_f16_e32 v3, v3, v48
	v_add_f16_e32 v19, v19, v55
	;; [unrolled: 1-line block ×3, first 2 shown]
	v_mul_f16_e64 v161, 0xbbf7, v67
	v_fma_f16 v48, v54, 0xbacd, -v159
	v_mul_f16_e64 v162, 0xb8d2, v72
	v_fmamk_f16 v65, v53, 0xbbf7, v100
	v_add_f16_e32 v20, v20, v57
	v_fma_f16 v57, v55, 0x2de8, -v161
	v_add_f16_e32 v21, v21, v48
	v_fma_f16 v48, 0x3a62, v53, v162
	v_mul_f16_e64 v163, 0x3a62, v67
	v_add_f16_e32 v74, v27, v29
	v_sub_f16_e32 v73, v27, v29
	v_add_f16_e32 v3, v3, v65
	v_add_f16_e32 v65, v19, v57
	;; [unrolled: 1-line block ×3, first 2 shown]
	v_fma_f16 v19, v55, 0xb8d2, -v163
	v_sub_f16_e32 v48, v30, v36
	v_mul_f16_e32 v103, 0xbacd, v74
	v_add_f16_e32 v57, v30, v36
	v_mul_f16_e64 v164, 0xb836, v73
	v_mul_f16_e64 v165, 0x3964, v73
	;; [unrolled: 1-line block ×3, first 2 shown]
	v_add_f16_e32 v21, v21, v19
	v_fmamk_f16 v19, v48, 0xb836, v103
	v_fma_f16 v20, v57, 0xbacd, -v164
	v_fma_f16 v75, v57, 0x39e9, -v165
	v_fma_f16 v76, 0x3964, v48, v166
	s_delay_alu instid0(VALU_DEP_4) | instskip(NEXT) | instid1(VALU_DEP_4)
	v_add_f16_e32 v19, v3, v19
	v_add_f16_e32 v20, v65, v20
	s_delay_alu instid0(VALU_DEP_4) | instskip(NEXT) | instid1(VALU_DEP_4)
	v_add_f16_e32 v21, v21, v75
	v_add_f16_e32 v3, v69, v76
	s_and_saveexec_b32 s1, s0
	s_cbranch_execz .LBB0_13
; %bb.12:
	v_mul_f16_e32 v104, 0xb1e1, v56
	v_mul_f16_e32 v102, 0xbbdd, v61
	;; [unrolled: 1-line block ×5, first 2 shown]
	v_fmamk_f16 v65, v46, 0xbbdd, v104
	v_fmamk_f16 v69, v40, 0x31e1, v102
	v_mul_f16_e32 v97, 0xbacd, v66
	v_fmamk_f16 v75, v45, 0x3b76, v110
	v_fmamk_f16 v76, v41, 0xb5c8, v96
	v_add_f16_e32 v65, v43, v65
	v_add_f16_e32 v69, v12, v69
	v_mul_f16_e32 v112, 0x3964, v60
	v_mul_f16_e32 v98, 0x39e9, v68
	v_fmamk_f16 v77, v50, 0xbacd, v107
	v_add_f16_e32 v65, v65, v75
	v_fmamk_f16 v75, v42, 0x3836, v97
	v_add_f16_e32 v69, v69, v76
	v_mul_f16_e32 v113, 0xba62, v62
	v_fmamk_f16 v78, v49, 0x39e9, v112
	v_add_f16_e32 v65, v65, v77
	v_mul_f16_e32 v99, 0xb8d2, v70
	v_fmamk_f16 v76, v44, 0xb964, v98
	v_add_f16_e32 v69, v69, v75
	v_fmamk_f16 v77, v51, 0xb8d2, v113
	v_add_f16_e32 v65, v65, v78
	v_mul_f16_e32 v108, 0x3b29, v64
	v_fmamk_f16 v75, v47, 0x3a62, v99
	v_add_f16_e32 v69, v69, v76
	v_mul_f16_e32 v124, 0xb836, v56
	v_add_f16_e32 v65, v65, v77
	v_fmamk_f16 v76, v54, 0x3722, v108
	v_mul_f16_e32 v125, 0x3b29, v58
	v_add_f16_e32 v69, v69, v75
	v_fmamk_f16 v75, v46, 0xbacd, v124
	;; [unrolled: 3-line block ×4, first 2 shown]
	v_mul_f16_e32 v123, 0xbbb2, v67
	v_mul_f16_e32 v106, 0xb461, v72
	v_mul_f16_e64 v132, 0x3a62, v60
	v_add_f16_e32 v75, v75, v76
	v_fmamk_f16 v76, v50, 0x2de8, v126
	v_add_f16_e32 v69, v69, v77
	v_fmamk_f16 v77, v55, 0xb461, v123
	v_fmamk_f16 v78, v53, 0x3bb2, v106
	v_mul_f16_e64 v131, 0x3bf7, v73
	v_add_f16_e32 v75, v75, v76
	v_fma_f16 v76, 0xb8d2, v49, v132
	v_mul_f16_e32 v114, 0xb5c8, v62
	v_mul_f16_e64 v135, 0xbacd, v61
	v_add_f16_e32 v65, v65, v77
	v_fma_f16 v77, 0x2de8, v57, v131
	v_add_f16_e32 v69, v69, v78
	v_mul_f16_e32 v109, 0x2de8, v74
	v_add_f16_e32 v75, v75, v76
	v_fmamk_f16 v76, v51, 0x3b76, v114
	v_mul_f16_e64 v133, 0xb1e1, v64
	v_fma_f16 v78, 0x3836, v40, v135
	v_mul_f16_e64 v136, 0x3722, v63
	v_add_f16_e32 v65, v65, v77
	v_fmamk_f16 v77, v48, 0xbbf7, v109
	v_add_f16_e32 v75, v75, v76
	v_fma_f16 v76, 0xbbdd, v54, v133
	v_mul_f16_e64 v134, 0x3964, v67
	v_add_f16_e32 v78, v12, v78
	v_fma_f16 v115, 0xbb29, v41, v136
	v_mul_f16_e64 v137, 0x2de8, v66
	v_add_f16_e32 v75, v75, v76
	v_fma_f16 v76, 0x39e9, v55, v134
	v_add_f16_e32 v69, v69, v77
	v_add_f16_e32 v77, v78, v115
	v_fma_f16 v78, 0x3bf7, v42, v137
	v_mul_f16_e32 v115, 0xb8d2, v68
	v_add_f16_e32 v75, v75, v76
	v_mul_f16_e64 v138, 0xba62, v56
	v_mul_f16_e32 v116, 0x3b76, v70
	v_add_f16_e32 v76, v77, v78
	v_fmamk_f16 v77, v44, 0xba62, v115
	v_mul_f16_e32 v117, 0xbbdd, v71
	v_fma_f16 v118, 0xb8d2, v46, v138
	v_mul_f16_e64 v144, 0xb8d2, v61
	v_mul_f16_e64 v139, 0x3bb2, v58
	v_add_f16_e32 v76, v76, v77
	v_fmamk_f16 v77, v47, 0x35c8, v116
	v_add_f16_e32 v120, v43, v118
	v_mul_f16_e32 v118, 0x39e9, v72
	v_fma_f16 v140, 0x3a62, v40, v144
	v_mul_f16_e64 v145, 0xb461, v63
	v_add_f16_e32 v76, v76, v77
	v_fmamk_f16 v77, v52, 0x31e1, v117
	v_mul_f16_e32 v119, 0xbbb2, v73
	v_fma_f16 v121, 0xb461, v45, v139
	v_mul_f16_e32 v127, 0xb5c8, v59
	v_mul_f16_e32 v122, 0xb461, v74
	v_add_f16_e32 v76, v76, v77
	v_fmamk_f16 v77, v53, 0xb964, v118
	v_add_f16_e64 v141, v12, v140
	v_fma_f16 v143, 0xbbb2, v41, v145
	v_mul_f16_e64 v154, 0xbbb2, v56
	v_fmamk_f16 v78, v57, 0xb461, v119
	v_add_f16_e32 v120, v120, v121
	v_fmamk_f16 v121, v50, 0x3b76, v127
	v_mul_f16_e64 v128, 0xb836, v60
	v_add_f16_e32 v76, v76, v77
	v_fma_f16 v130, 0x3bb2, v48, v122
	v_mul_f16_e64 v146, 0x3b76, v66
	v_add_f16_e64 v141, v141, v143
	v_fma_f16 v143, 0xb461, v46, v154
	v_mul_f16_e64 v155, 0x3836, v58
	v_add_f16_e32 v75, v75, v78
	v_add_f16_e32 v78, v120, v121
	v_fma_f16 v120, 0xbacd, v49, v128
	v_mul_f16_e64 v129, 0x3bf7, v62
	v_fma_f16 v147, 0x35c8, v42, v146
	v_mul_f16_e64 v158, 0xbacd, v68
	v_add_f16_e64 v76, v76, v130
	v_add_f16_e64 v130, v43, v143
	v_fma_f16 v143, 0xbacd, v45, v155
	v_mul_f16_e64 v156, 0x3964, v59
	v_add_f16_e32 v77, v78, v120
	v_fma_f16 v78, 0x2de8, v51, v129
	v_mul_f16_e32 v120, 0xb964, v64
	v_add_f16_e64 v141, v141, v147
	v_fma_f16 v147, 0x3836, v44, v158
	v_mul_f16_e64 v160, 0x2de8, v70
	v_add_f16_e64 v130, v130, v143
	v_fma_f16 v143, 0x39e9, v50, v156
	v_mul_f16_e64 v150, 0xbb29, v60
	v_add_f16_e32 v77, v77, v78
	v_fmamk_f16 v78, v54, 0x39e9, v120
	v_mul_f16_e32 v121, 0xb1e1, v67
	v_add_f16_e64 v141, v141, v147
	v_fma_f16 v147, 0xbbf7, v47, v160
	v_mul_f16_e64 v153, 0x39e9, v71
	v_add_f16_e64 v130, v130, v143
	v_fma_f16 v143, 0x3722, v49, v150
	v_mul_f16_e64 v151, 0xb1e1, v62
	v_add_f16_e32 v77, v77, v78
	v_fmamk_f16 v78, v55, 0xbbdd, v121
	v_mul_f16_e64 v140, 0x3b29, v73
	v_add_f16_e64 v141, v141, v147
	v_fma_f16 v167, 0x3964, v52, v153
	v_mul_f16_e64 v147, 0xbbdd, v72
	v_add_f16_e64 v130, v130, v143
	v_fma_f16 v143, 0xbbdd, v51, v151
	v_mul_f16_e64 v149, 0x3bf7, v64
	v_add_f16_e32 v77, v77, v78
	v_add_f16_e64 v78, v141, v167
	v_fma_f16 v167, 0x31e1, v53, v147
	v_add_f16_e64 v130, v130, v143
	v_fma_f16 v168, 0x2de8, v54, v149
	v_mul_f16_e64 v143, 0xb5c8, v67
	v_fma_f16 v169, 0x3722, v57, v140
	v_mul_f16_e64 v141, 0x3722, v74
	v_add_f16_e64 v78, v78, v167
	v_add_f16_e64 v167, v130, v168
	v_fma_f16 v168, 0x3b76, v55, v143
	v_mul_f16_e64 v130, 0xba62, v73
	v_fma_f16 v170, 0xbb29, v48, v141
	v_add_f16_e64 v77, v77, v169
	v_mul_f16_e64 v169, 0xbbf7, v40
	v_add_f16_e64 v167, v167, v168
	v_fma_f16 v168, 0xb8d2, v57, v130
	v_add_f16_e64 v78, v78, v170
	v_mul_f16_e64 v170, 0xb1e1, v41
	v_sub_f16_e64 v169, v79, v169
	v_mul_f16_e64 v171, 0x2de8, v46
	v_add_f16_e64 v79, v167, v168
	v_mul_f16_e64 v167, 0xbbdd, v45
	v_sub_f16_e64 v168, v81, v170
	v_add_f16_e64 v169, v12, v169
	v_add_f16_e64 v81, v171, v80
	v_mul_f16_e64 v170, 0x3bb2, v42
	v_mul_f16_e64 v171, 0xb461, v50
	v_add_f16_e64 v80, v167, v83
	v_add_f16_e64 v167, v169, v168
	v_mul_f16_e64 v168, 0x3722, v46
	v_sub_f16_e64 v92, v92, v170
	v_add_f16_e64 v83, v171, v94
	v_mul_f16_e32 v94, 0x35c8, v44
	v_mul_f16_e64 v169, 0xb8d2, v45
	v_add_f16_e64 v84, v168, v84
	v_add_f16_e64 v92, v167, v92
	v_mul_f16_e64 v167, 0x3b76, v49
	v_sub_f16_e32 v94, v105, v94
	v_add_f16_e64 v85, v169, v85
	v_add_f16_e32 v105, v43, v84
	v_mul_f16_e64 v168, 0xbbdd, v50
	v_add_f16_e64 v84, v167, v111
	v_mul_f16_e32 v111, 0xbb29, v47
	v_add_f16_e32 v92, v92, v94
	v_add_f16_e32 v105, v105, v85
	v_add_f16_e64 v87, v168, v87
	v_mul_f16_e64 v168, 0xb461, v49
	v_sub_f16_e64 v94, v148, v111
	v_mul_f16_e32 v111, 0xb836, v52
	v_mul_f16_e64 v167, 0x3722, v51
	v_add_f16_e32 v87, v105, v87
	v_add_f16_e64 v88, v168, v88
	v_mul_f16_e32 v105, 0x39e9, v51
	v_add_f16_e32 v92, v92, v94
	v_mul_f16_e32 v94, 0xbacd, v54
	v_mul_f16_e64 v148, 0x39e9, v57
	v_add_f16_e32 v88, v87, v88
	v_add_f16_e32 v90, v105, v90
	v_sub_f16_e64 v105, v157, v111
	v_mul_f16_e32 v111, 0x3b76, v54
	v_add_f16_e64 v87, v94, v159
	v_mul_f16_e32 v94, 0x3a62, v53
	v_add_f16_e32 v90, v88, v90
	v_add_f16_e32 v92, v92, v105
	v_add_f16_e64 v111, v111, v142
	v_mul_f16_e32 v105, 0x2de8, v55
	v_sub_f16_e64 v94, v162, v94
	v_mul_f16_e64 v142, 0xbacd, v57
	v_add_f16_e64 v85, v167, v152
	v_add_f16_e32 v90, v90, v111
	v_mul_f16_e32 v111, 0x3964, v48
	v_add_f16_e64 v105, v105, v161
	v_add_f16_e32 v92, v92, v94
	v_mul_f16_e64 v152, 0xba62, v41
	v_mul_f16_e64 v157, 0x31e1, v42
	v_sub_f16_e64 v94, v166, v111
	v_add_f16_e64 v111, v142, v164
	v_mul_f16_e64 v142, 0x39e9, v61
	v_add_f16_e32 v105, v90, v105
	v_add_f16_e64 v90, v148, v165
	v_mul_f16_e64 v148, 0xbb29, v40
	v_mul_f16_e64 v161, 0x2de8, v63
	v_fma_f16 v159, 0x3964, v40, v142
	v_mul_f16_e32 v88, 0xb8d2, v55
	v_add_f16_e32 v92, v92, v94
	v_add_f16_e32 v94, v105, v111
	v_sub_f16_e64 v111, v82, v148
	v_sub_f16_e64 v86, v86, v152
	v_add_f16_e64 v82, v12, v159
	v_fma_f16 v105, 0x3bf7, v41, v161
	v_mul_f16_e64 v148, 0xb8d2, v66
	v_mul_f16_e64 v152, 0x3bb2, v44
	v_sub_f16_e64 v89, v89, v157
	v_mul_f16_e64 v157, 0x3964, v47
	v_add_f16_e64 v88, v88, v163
	v_add_f16_e32 v82, v82, v105
	v_fma_f16 v159, 0x3a62, v42, v148
	v_mul_f16_e64 v162, 0xbbdd, v68
	v_mul_f16_e64 v163, 0xb5c8, v52
	;; [unrolled: 1-line block ×3, first 2 shown]
	v_sub_f16_e64 v105, v91, v152
	v_sub_f16_e64 v91, v93, v157
	v_mul_f16_e64 v157, 0xb5c8, v56
	v_add_f16_e64 v152, v82, v159
	v_fma_f16 v159, 0x31e1, v44, v162
	v_mul_f16_e64 v165, 0xbacd, v70
	v_sub_f16_e64 v82, v95, v163
	v_sub_f16_e64 v93, v100, v164
	v_fma_f16 v100, 0x3b76, v46, v157
	v_mul_f16_e64 v163, 0xb964, v58
	v_add_f16_e64 v95, v152, v159
	v_fma_f16 v152, 0xb836, v47, v165
	v_mul_f16_e64 v159, 0xb461, v71
	v_add_f16_e32 v100, v43, v100
	v_fma_f16 v166, 0x39e9, v45, v163
	v_mul_f16_e64 v167, 0xbb29, v59
	v_add_f16_e64 v95, v95, v152
	v_fma_f16 v152, 0xbbb2, v52, v159
	v_mul_f16_e64 v164, 0x3722, v72
	v_mul_f16_e64 v168, 0xb836, v48
	v_add_f16_e64 v100, v100, v166
	v_fma_f16 v166, 0x3722, v50, v167
	v_mul_f16_e64 v170, 0xbbf7, v60
	v_add_f16_e64 v152, v95, v152
	v_fma_f16 v169, 0xbb29, v53, v164
	v_sub_f16_e64 v95, v103, v168
	v_add_f16_e64 v100, v100, v166
	v_fma_f16 v166, 0x2de8, v49, v170
	v_mul_f16_e64 v168, 0xbbb2, v62
	v_add_f16_e64 v103, v152, v169
	v_mul_f16_e64 v169, 0x3b76, v74
	v_mul_f16_e64 v173, 0xba62, v64
	v_add_f16_e64 v100, v100, v166
	v_fma_f16 v166, 0xb461, v51, v168
	v_fma_f16 v110, v45, 0x3b76, -v110
	v_fma_f16 v178, 0xb5c8, v48, v169
	v_fma_f16 v107, v50, 0xbacd, -v107
	v_fma_f16 v112, v49, 0x39e9, -v112
	v_add_f16_e64 v100, v100, v166
	v_fma_f16 v166, 0xb8d2, v54, v173
	v_fmac_f16_e32 v102, 0xb1e1, v40
	v_fmac_f16_e32 v96, 0x35c8, v41
	v_fma_f16 v124, v46, 0xbacd, -v124
	v_fmac_f16_e32 v97, 0xb836, v42
	v_add_f16_e64 v166, v100, v166
	v_add_f16_e64 v100, v103, v178
	v_fma_f16 v103, v46, 0xbbdd, -v104
	v_fmac_f16_e32 v98, 0x3964, v44
	v_fmac_f16_e32 v99, 0xba62, v47
	v_fmac_f16_e64 v135, 0xb836, v40
	v_fmac_f16_e64 v136, 0x3b29, v41
	v_add_f16_e32 v103, v43, v103
	v_fmac_f16_e32 v101, 0x3b29, v52
	v_fmac_f16_e64 v137, 0xbbf7, v42
	v_fma_f16 v108, v54, 0x3722, -v108
	v_fmac_f16_e32 v106, 0xbbb2, v53
	v_add_f16_e32 v110, v103, v110
	v_fmac_f16_e32 v115, 0x3a62, v44
	v_fmac_f16_e32 v109, 0x3bf7, v48
	;; [unrolled: 1-line block ×3, first 2 shown]
	v_fmac_f16_e64 v144, 0xba62, v40
	v_add_f16_e32 v110, v110, v107
	v_fmac_f16_e64 v145, 0x3bb2, v41
	v_fmac_f16_e64 v146, 0xb5c8, v42
	v_mul_f16_e64 v152, 0x3b76, v61
	v_fmac_f16_e64 v158, 0xb836, v44
	v_add_f16_e32 v110, v110, v112
	v_fma_f16 v112, v51, 0xb8d2, -v113
	v_add_f16_e32 v113, v12, v102
	v_mul_f16_e32 v61, 0xb461, v61
	v_fma_f16 v171, 0x35c8, v40, v152
	v_mul_f16_e64 v172, 0x39e9, v63
	v_add_f16_e32 v110, v110, v112
	v_add_f16_e32 v96, v113, v96
	;; [unrolled: 1-line block ×3, first 2 shown]
	v_fma_f16 v113, v45, 0x3722, -v125
	v_fmac_f16_e64 v160, 0x3bf7, v47
	v_add_f16_e32 v108, v110, v108
	v_add_f16_e32 v96, v96, v97
	v_fma_f16 v110, v55, 0xb461, -v123
	v_add_f16_e32 v97, v112, v113
	v_fma_f16 v112, v50, 0x2de8, -v126
	v_mul_f16_e32 v63, 0xbacd, v63
	v_add_f16_e32 v96, v96, v98
	v_fma_f16 v98, v49, 0xb8d2, -v132
	v_add_f16_e32 v108, v108, v110
	v_add_f16_e32 v97, v97, v112
	v_fma_f16 v110, v57, 0x2de8, -v131
	v_add_f16_e32 v96, v96, v99
	v_add_f16_e64 v99, v12, v135
	v_fmamk_f16 v112, v40, 0x3bb2, v61
	v_add_f16_e32 v97, v97, v98
	v_fma_f16 v98, v51, 0x3b76, -v114
	v_add_f16_e32 v96, v96, v101
	v_add_f16_e64 v99, v99, v136
	v_fma_f16 v101, v46, 0xb8d2, -v138
	v_add_f16_e32 v108, v108, v110
	v_add_f16_e32 v97, v97, v98
	v_fma_f16 v98, v54, 0xbbdd, -v133
	v_add_f16_e64 v99, v99, v137
	v_add_f16_e32 v96, v96, v106
	v_add_f16_e32 v101, v43, v101
	v_fma_f16 v106, v45, 0xb461, -v139
	v_add_f16_e32 v97, v97, v98
	v_fma_f16 v98, v55, 0x39e9, -v134
	v_add_f16_e32 v99, v99, v115
	v_add_f16_e32 v96, v96, v109
	v_fma_f16 v109, v46, 0xb461, -v154
	v_fma_f16 v110, v45, 0xbacd, -v155
	v_add_f16_e32 v97, v97, v98
	v_fma_f16 v98, v57, 0xb461, -v119
	v_fmac_f16_e32 v61, 0xbbb2, v40
	v_add_f16_e32 v109, v43, v109
	v_add_f16_e64 v171, v12, v171
	v_fma_f16 v174, 0x3964, v41, v172
	v_add_f16_e32 v97, v97, v98
	v_add_f16_e32 v98, v99, v116
	;; [unrolled: 1-line block ×3, first 2 shown]
	v_add_f16_e64 v106, v12, v144
	v_fma_f16 v101, v50, 0x3b76, -v127
	v_add_f16_e32 v109, v109, v110
	v_fma_f16 v110, v50, 0x39e9, -v156
	v_mul_f16_e64 v175, 0x3722, v66
	v_add_f16_e64 v106, v106, v145
	v_add_f16_e32 v99, v99, v101
	v_fma_f16 v101, v49, 0xbacd, -v128
	v_add_f16_e32 v109, v109, v110
	v_fma_f16 v110, v49, 0x3722, -v150
	v_add_f16_e64 v106, v106, v146
	v_fmac_f16_e64 v153, 0xb964, v52
	v_add_f16_e32 v99, v99, v101
	v_fma_f16 v101, v51, 0x2de8, -v129
	v_add_f16_e32 v109, v109, v110
	v_add_f16_e64 v106, v106, v158
	v_fma_f16 v110, v51, 0xbbdd, -v151
	v_add_f16_e32 v61, v12, v61
	v_add_f16_e32 v99, v99, v101
	v_fma_f16 v101, v54, 0x39e9, -v120
	v_add_f16_e64 v106, v106, v160
	v_fmamk_f16 v113, v41, 0xb836, v63
	v_fmac_f16_e32 v63, 0x3836, v41
	v_mul_f16_e32 v66, 0x39e9, v66
	v_add_f16_e64 v171, v171, v174
	v_fma_f16 v174, 0x3b29, v42, v175
	v_mul_f16_e64 v177, 0x2de8, v68
	v_add_f16_e32 v99, v99, v101
	v_fma_f16 v101, v55, 0xbbdd, -v121
	v_add_f16_e64 v106, v106, v153
	v_fmac_f16_e64 v147, 0xb1e1, v53
	v_add_f16_e32 v109, v109, v110
	v_fma_f16 v110, v54, 0x2de8, -v149
	v_add_f16_e32 v61, v61, v63
	v_fmamk_f16 v63, v42, 0xb964, v66
	v_fmac_f16_e32 v66, 0x3964, v42
	v_mul_f16_e32 v68, 0x3722, v68
	v_add_f16_e64 v171, v171, v174
	v_fma_f16 v174, 0x3bf7, v44, v177
	v_mul_f16_e64 v180, 0xb461, v70
	v_add_f16_e32 v99, v99, v101
	v_fma_f16 v101, v57, 0x3722, -v140
	v_add_f16_e64 v106, v106, v147
	v_fmac_f16_e64 v141, 0x3b29, v48
	v_add_f16_e32 v109, v109, v110
	v_fma_f16 v110, v55, 0x3b76, -v143
	v_add_f16_e32 v61, v61, v66
	v_fmamk_f16 v66, v44, 0x3b29, v68
	v_fmac_f16_e32 v68, 0xbb29, v44
	v_mul_f16_e32 v70, 0xbbdd, v70
	v_mul_f16_e32 v56, 0xb964, v56
	v_add_f16_e64 v104, v171, v174
	v_mul_f16_e64 v174, 0xb8d2, v71
	v_add_f16_e32 v99, v99, v101
	v_add_f16_e64 v101, v106, v141
	v_add_f16_e32 v106, v109, v110
	v_add_f16_e32 v61, v61, v68
	v_fmamk_f16 v68, v47, 0x31e1, v70
	v_fmac_f16_e32 v70, 0xb1e1, v47
	v_mul_f16_e32 v71, 0x2de8, v71
	v_fma_f16 v110, v46, 0x39e9, -v56
	v_mul_f16_e32 v58, 0xbbf7, v58
	v_fma_f16 v171, 0x3bb2, v47, v180
	v_fma_f16 v109, v57, 0xb8d2, -v130
	v_add_f16_e32 v61, v61, v70
	v_fmamk_f16 v70, v52, 0xbbf7, v71
	v_fmac_f16_e32 v71, 0x3bf7, v52
	v_add_f16_e32 v110, v43, v110
	v_fma_f16 v114, v45, 0x2de8, -v58
	v_mul_f16_e32 v59, 0xba62, v59
	v_add_f16_e64 v171, v104, v171
	v_mul_f16_e32 v104, 0xbacd, v72
	v_add_f16_e32 v106, v106, v109
	v_mul_f16_e32 v72, 0x3b76, v72
	v_add_f16_e32 v61, v61, v71
	v_add_f16_e32 v71, v110, v114
	v_fma_f16 v109, v50, 0xb8d2, -v59
	v_mul_f16_e32 v60, 0xb1e1, v60
	v_fmamk_f16 v110, v53, 0x35c8, v72
	v_fmac_f16_e32 v72, 0xb5c8, v53
	v_mul_f16_e32 v62, 0x3836, v62
	v_add_f16_e32 v71, v71, v109
	v_fma_f16 v109, v49, 0xbbdd, -v60
	v_mul_f16_e32 v64, 0x3bb2, v64
	v_add_f16_e32 v61, v61, v72
	v_fma_f16 v72, v51, 0xbacd, -v62
	v_mul_f16_e64 v176, 0xb836, v67
	v_add_f16_e32 v71, v71, v109
	v_mul_f16_e32 v67, 0x3b29, v67
	v_add_f16_e32 v9, v12, v9
	v_add_f16_e32 v39, v43, v39
	v_fma_f16 v116, v45, 0x39e9, -v163
	v_add_f16_e32 v71, v71, v72
	v_fma_f16 v72, v54, 0xb461, -v64
	v_add_f16_e32 v8, v9, v8
	v_add_f16_e32 v38, v39, v38
	v_mul_f16_e64 v178, 0xb1e1, v73
	v_fmamk_f16 v45, v45, 0x2de8, v58
	v_add_f16_e32 v71, v71, v72
	v_fma_f16 v72, v55, 0x3722, -v67
	v_add_f16_e32 v7, v8, v7
	v_add_f16_e32 v37, v38, v37
	v_fmac_f16_e64 v142, 0xb964, v40
	v_fmac_f16_e64 v152, 0xb5c8, v40
	v_add_f16_e32 v71, v71, v72
	v_fma_f16 v72, v46, 0x3b76, -v157
	v_add_f16_e32 v6, v7, v6
	v_add_f16_e32 v35, v37, v35
	v_fma_f16 v7, v51, 0xb461, -v168
	v_fmamk_f16 v46, v46, 0x39e9, v56
	v_add_f16_e32 v72, v43, v72
	v_fma_f16 v43, v50, 0x3722, -v167
	v_add_f16_e32 v5, v6, v5
	v_add_f16_e32 v33, v35, v33
	v_fmamk_f16 v50, v50, 0xb8d2, v59
	v_add_f16_e32 v72, v72, v116
	v_add_f16_e64 v114, v12, v142
	v_add_f16_e32 v4, v5, v4
	v_add_f16_e32 v32, v33, v32
	v_add_f16_e64 v8, v12, v152
	v_add_f16_e32 v39, v72, v43
	v_fmamk_f16 v43, v49, 0xbbdd, v60
	v_fma_f16 v49, v49, 0x2de8, -v170
	v_add_f16_e32 v2, v4, v2
	v_fmac_f16_e64 v161, 0xbbf7, v41
	v_fmac_f16_e64 v172, 0xb964, v41
	v_fmamk_f16 v9, v51, 0xbacd, v62
	v_add_f16_e32 v39, v39, v49
	v_add_f16_e32 v2, v2, v27
	v_pack_b32_f16 v27, v112, v81
	v_add_f16_e64 v109, v114, v161
	v_fmac_f16_e64 v148, 0xba62, v42
	v_add_f16_e32 v6, v39, v7
	v_fma_f16 v7, v54, 0xb8d2, -v173
	v_add_f16_e32 v2, v2, v29
	v_add_f16_e64 v8, v8, v172
	v_fmac_f16_e64 v175, 0xbb29, v42
	v_fma_f16 v179, 0xbacd, v55, v176
	v_add_f16_e32 v5, v6, v7
	v_fma_f16 v6, v55, 0xbacd, -v176
	v_add_f16_e32 v7, v32, v31
	v_add_f16_e32 v2, v28, v2
	v_fmamk_f16 v38, v54, 0xb461, v64
	v_pack_b32_f16 v9, v91, v9
	v_add_f16_e32 v5, v5, v6
	v_add_f16_e32 v6, v7, v30
	v_fma_f16 v7, v57, 0xbbdd, -v178
	v_add_f16_e32 v2, v23, v2
	v_pack_b32_f16 v23, v86, v45
	v_add_f16_e64 v109, v109, v148
	v_add_f16_e32 v6, v6, v36
	v_add_f16_e32 v5, v5, v7
	v_pack_b32_f16 v7, v111, v46
	v_add_f16_e32 v2, v17, v2
	v_pack_b32_f16 v17, v89, v50
	v_add_f16_e32 v6, v34, v6
	v_fmac_f16_e64 v162, 0xb1e1, v44
	v_pk_add_f16 v7, v12, v7
	v_pk_add_f16 v12, v12, v27
	v_add_f16_e32 v2, v15, v2
	v_add_f16_e32 v6, v26, v6
	v_pack_b32_f16 v26, v113, v80
	v_pk_add_f16 v7, v7, v23
	v_pack_b32_f16 v23, v63, v83
	v_pack_b32_f16 v15, v105, v43
	v_add_f16_e32 v6, v25, v6
	v_pk_add_f16 v12, v12, v26
	v_pk_add_f16 v7, v7, v17
	v_pack_b32_f16 v17, v66, v84
	v_add_f16_e32 v2, v13, v2
	v_add_f16_e32 v6, v24, v6
	v_pk_add_f16 v12, v12, v23
	v_pk_add_f16 v7, v7, v15
	v_pack_b32_f16 v13, v68, v85
	v_add_f16_e64 v8, v8, v175
	v_add_f16_e32 v6, v22, v6
	v_pk_add_f16 v12, v12, v17
	v_fmac_f16_e64 v177, 0xbbf7, v44
	v_add_f16_e64 v166, v166, v179
	v_fma_f16 v179, 0x3a62, v52, v174
	v_mul_f16_e32 v73, 0x35c8, v73
	v_fmamk_f16 v40, v55, 0x3722, v67
	v_pk_add_f16 v7, v7, v9
	v_pack_b32_f16 v9, v82, v38
	v_mul_f16_e32 v103, 0xbbdd, v74
	v_mul_f16_e32 v74, 0xb8d2, v74
	v_add_f16_e32 v6, v16, v6
	v_add_f16_e32 v2, v11, v2
	v_pk_add_f16 v11, v12, v13
	v_pack_b32_f16 v12, v70, v87
	v_add_f16_e64 v109, v109, v162
	v_fmac_f16_e64 v165, 0x3836, v47
	v_add_f16_e64 v4, v8, v177
	v_fmac_f16_e64 v180, 0xbbb2, v47
	v_fma_f16 v181, 0xbbdd, v57, v178
	v_add_f16_e64 v171, v171, v179
	v_fma_f16 v179, 0x3836, v53, v104
	v_fmac_f16_e32 v117, 0xb1e1, v52
	v_fmamk_f16 v58, v57, 0x3b76, v73
	v_pk_add_f16 v7, v7, v9
	v_pack_b32_f16 v9, v93, v40
	v_fmamk_f16 v114, v48, 0x3a62, v74
	v_add_f16_e32 v6, v14, v6
	v_add_f16_e32 v2, v10, v2
	v_pk_add_f16 v10, v11, v12
	v_pack_b32_f16 v11, v110, v88
	v_add_f16_e64 v109, v109, v165
	v_fmac_f16_e64 v159, 0x3bb2, v52
	v_add_f16_e64 v4, v4, v180
	v_fmac_f16_e64 v174, 0xba62, v52
	v_add_f16_e64 v107, v166, v181
	v_add_f16_e64 v166, v171, v179
	v_fma_f16 v171, 0x31e1, v48, v103
	v_add_f16_e32 v98, v98, v117
	v_fmac_f16_e32 v118, 0x3964, v53
	v_pk_add_f16 v7, v7, v9
	v_pack_b32_f16 v9, v95, v58
	v_lshlrev_b32_e32 v6, 16, v6
	v_and_b32_e32 v2, 0xffff, v2
	v_pk_add_f16 v10, v10, v11
	v_pack_b32_f16 v11, v114, v90
	v_add_f16_e64 v56, v109, v159
	v_fmac_f16_e64 v164, 0x3b29, v53
	v_add_f16_e64 v4, v4, v174
	v_fmac_f16_e32 v104, 0xb836, v53
	v_add_f16_e64 v102, v166, v171
	v_add_f16_e32 v98, v98, v118
	v_fmac_f16_e32 v122, 0xbbb2, v48
	v_pk_add_f16 v7, v7, v9
	v_fmac_f16_e32 v74, 0xba62, v48
	v_or_b32_e32 v2, v6, v2
	v_pk_add_f16 v6, v10, v11
	v_fma_f16 v115, v57, 0x3b76, -v73
	v_add_f16_e64 v56, v56, v164
	v_fmac_f16_e64 v169, 0x35c8, v48
	v_add_f16_e32 v4, v4, v104
	v_fmac_f16_e32 v103, 0xb1e1, v48
	v_mad_u32_u24 v9, 0x44, v18, 0
	v_pack_b32_f16 v10, v102, v107
	v_add_f16_e32 v98, v98, v122
	v_bfi_b32 v11, 0xffff, v100, v7
	v_pack_b32_f16 v7, v7, v94
	v_add_f16_e32 v61, v61, v74
	v_bfi_b32 v12, 0xffff, v92, v6
	v_pack_b32_f16 v6, v6, v79
	v_add_f16_e32 v71, v71, v115
	v_add_f16_e64 v8, v56, v169
	v_pack_b32_f16 v13, v76, v75
	v_pack_b32_f16 v14, v78, v77
	v_add_f16_e32 v4, v4, v103
	ds_store_2addr_b32 v9, v2, v10 offset1:1
	ds_store_2addr_b32 v9, v11, v7 offset0:2 offset1:3
	ds_store_2addr_b32 v9, v12, v6 offset0:4 offset1:5
	;; [unrolled: 1-line block ×3, first 2 shown]
	v_pack_b32_f16 v2, v96, v108
	v_pack_b32_f16 v6, v69, v65
	;; [unrolled: 1-line block ×5, first 2 shown]
	v_perm_b32 v12, v21, v3, 0x5040100
	v_pack_b32_f16 v8, v8, v71
	v_perm_b32 v13, v20, v19, 0x5040100
	v_pack_b32_f16 v4, v4, v5
	ds_store_2addr_b32 v9, v6, v2 offset0:8 offset1:9
	ds_store_2addr_b32 v9, v10, v7 offset0:10 offset1:11
	;; [unrolled: 1-line block ×4, first 2 shown]
	ds_store_b32 v9, v4 offset:64
.LBB0_13:
	s_wait_alu 0xfffe
	s_or_b32 exec_lo, exec_lo, s1
	v_and_b32_e32 v2, 0xff, v18
	global_wb scope:SCOPE_SE
	s_wait_dscnt 0x0
	s_barrier_signal -1
	s_barrier_wait -1
	global_inv scope:SCOPE_SE
	v_mul_lo_u16 v2, 0xf1, v2
	v_lshl_add_u32 v6, v18, 2, 0
	v_cmp_gt_u32_e64 s0, 17, v18
	s_delay_alu instid0(VALU_DEP_3) | instskip(NEXT) | instid1(VALU_DEP_3)
	v_lshrrev_b16 v8, 12, v2
	v_add_nc_u32_e32 v14, 0x400, v6
	s_delay_alu instid0(VALU_DEP_2) | instskip(SKIP_1) | instid1(VALU_DEP_2)
	v_mul_lo_u16 v2, v8, 17
	v_and_b32_e32 v8, 0xffff, v8
	v_sub_nc_u16 v2, v18, v2
	s_delay_alu instid0(VALU_DEP_2) | instskip(NEXT) | instid1(VALU_DEP_2)
	v_mul_u32_u24_e32 v8, 0x374, v8
	v_and_b32_e32 v7, 0xff, v2
	s_delay_alu instid0(VALU_DEP_1) | instskip(SKIP_1) | instid1(VALU_DEP_2)
	v_mul_u32_u24_e32 v2, 12, v7
	v_lshlrev_b32_e32 v7, 2, v7
	v_lshlrev_b32_e32 v2, 2, v2
	s_delay_alu instid0(VALU_DEP_2)
	v_add3_u32 v7, 0, v8, v7
	s_clause 0x2
	global_load_b128 v[22:25], v2, s[4:5]
	global_load_b128 v[31:34], v2, s[4:5] offset:16
	global_load_b128 v[35:38], v2, s[4:5] offset:32
	ds_load_2addr_b32 v[4:5], v6 offset1:51
	ds_load_2addr_b32 v[39:40], v6 offset0:204 offset1:255
	ds_load_b32 v17, v6 offset:2448
	v_add_nc_u32_e32 v2, 0x600, v6
	ds_load_2addr_b32 v[29:30], v6 offset0:102 offset1:153
	ds_load_2addr_b32 v[41:42], v14 offset0:50 offset1:101
	;; [unrolled: 1-line block ×4, first 2 shown]
	global_wb scope:SCOPE_SE
	s_wait_loadcnt_dscnt 0x0
	s_barrier_signal -1
	s_barrier_wait -1
	global_inv scope:SCOPE_SE
	v_lshrrev_b32_e32 v48, 16, v5
	v_lshrrev_b32_e32 v10, 16, v40
	;; [unrolled: 1-line block ×25, first 2 shown]
	v_mul_f16_e32 v63, v2, v48
	v_mul_f16_e32 v64, v2, v5
	;; [unrolled: 1-line block ×24, first 2 shown]
	v_fma_f16 v62, v22, v5, -v63
	v_fmac_f16_e32 v64, v22, v48
	v_fma_f16 v48, v23, v29, -v65
	v_fma_f16 v29, v40, v31, -v70
	v_fmac_f16_e32 v27, v10, v31
	v_add_f16_e32 v31, v62, v4
	v_fmac_f16_e32 v66, v23, v49
	v_fma_f16 v49, v24, v30, -v67
	v_fma_f16 v5, v41, v32, -v71
	v_fmac_f16_e32 v2, v52, v32
	v_add_f16_e32 v32, v64, v26
	v_add_f16_e32 v31, v31, v48
	v_fmac_f16_e32 v68, v24, v50
	v_fma_f16 v30, v25, v39, -v69
	v_fma_f16 v24, v44, v35, -v58
	;; [unrolled: 1-line block ×3, first 2 shown]
	v_fmac_f16_e32 v11, v47, v38
	v_add_f16_e32 v32, v32, v66
	v_add_f16_e32 v31, v31, v49
	v_fmac_f16_e32 v28, v25, v51
	v_fma_f16 v25, v43, v34, -v73
	v_fmac_f16_e32 v15, v55, v35
	v_fma_f16 v23, v45, v36, -v59
	v_fmac_f16_e32 v13, v56, v36
	v_fma_f16 v22, v46, v37, -v60
	v_fmac_f16_e32 v12, v57, v37
	v_sub_f16_e32 v35, v62, v17
	v_sub_f16_e32 v36, v64, v11
	v_add_f16_e32 v45, v30, v24
	v_sub_f16_e32 v47, v30, v24
	v_add_f16_e32 v32, v32, v68
	v_add_f16_e32 v30, v31, v30
	v_fma_f16 v10, v42, v33, -v72
	v_fmac_f16_e32 v9, v53, v33
	v_fmac_f16_e32 v16, v54, v34
	v_add_f16_e32 v33, v62, v17
	v_add_f16_e32 v34, v64, v11
	;; [unrolled: 1-line block ×3, first 2 shown]
	v_sub_f16_e32 v39, v48, v22
	v_sub_f16_e32 v40, v66, v12
	v_add_f16_e32 v46, v28, v15
	v_sub_f16_e32 v50, v28, v15
	v_add_f16_e32 v51, v29, v25
	v_sub_f16_e32 v53, v29, v25
	v_mul_f16_e32 v48, 0xb770, v36
	v_mul_f16_e32 v55, 0xb770, v35
	;; [unrolled: 1-line block ×5, first 2 shown]
	v_add_f16_e32 v28, v32, v28
	v_add_f16_e32 v29, v30, v29
	;; [unrolled: 1-line block ×5, first 2 shown]
	v_sub_f16_e32 v43, v49, v23
	v_sub_f16_e32 v44, v68, v13
	v_add_f16_e32 v52, v27, v16
	v_sub_f16_e32 v54, v27, v16
	v_mul_f16_e32 v58, 0xbbf1, v36
	v_mul_f16_e32 v60, 0xbb7b, v36
	;; [unrolled: 1-line block ×12, first 2 shown]
	v_fma_f16 v49, v33, 0x3b15, -v48
	v_fmamk_f16 v68, v34, 0x3b15, v55
	v_fma_f16 v55, v34, 0x3b15, -v55
	v_fma_f16 v105, v33, 0x388b, -v56
	v_fmamk_f16 v106, v34, 0x388b, v57
	v_fmac_f16_e32 v56, 0x388b, v33
	v_fma_f16 v57, v34, 0x388b, -v57
	v_fmamk_f16 v108, v34, 0x2fb7, v59
	v_fma_f16 v59, v34, 0x2fb7, -v59
	v_add_f16_e32 v27, v28, v27
	v_add_f16_e32 v29, v29, v5
	v_mul_f16_e32 v69, 0xb3a8, v40
	v_mul_f16_e32 v71, 0x394e, v40
	;; [unrolled: 1-line block ×11, first 2 shown]
	v_fmac_f16_e32 v48, 0x3b15, v33
	v_fma_f16 v107, v33, 0x2fb7, -v58
	v_fmac_f16_e32 v58, 0x2fb7, v33
	v_fma_f16 v109, v33, 0xb5ac, -v60
	v_fmamk_f16 v110, v34, 0xb5ac, v61
	v_fmac_f16_e32 v60, 0xb5ac, v33
	v_fma_f16 v61, v34, 0xb5ac, -v61
	v_fma_f16 v111, v33, 0xb9fd, -v62
	v_fmamk_f16 v112, v34, 0xb9fd, v63
	v_fmac_f16_e32 v62, 0xb9fd, v33
	v_fma_f16 v63, v34, 0xb9fd, -v63
	;; [unrolled: 4-line block ×3, first 2 shown]
	v_fma_f16 v34, v37, 0x388b, -v64
	v_fmamk_f16 v35, v38, 0x388b, v65
	v_fma_f16 v65, v38, 0x388b, -v65
	v_fma_f16 v115, v37, 0xb5ac, -v66
	v_fmamk_f16 v116, v38, 0xb5ac, v67
	v_fmac_f16_e32 v66, 0xb5ac, v37
	v_fma_f16 v67, v38, 0xb5ac, -v67
	v_fmamk_f16 v118, v38, 0xbbc4, v70
	v_fma_f16 v70, v38, 0xbbc4, -v70
	v_add_f16_e32 v31, v49, v4
	v_add_f16_e32 v32, v68, v26
	;; [unrolled: 1-line block ×9, first 2 shown]
	v_mul_f16_e32 v77, 0xb3a8, v44
	v_mul_f16_e32 v79, 0x3b7b, v44
	;; [unrolled: 1-line block ×12, first 2 shown]
	v_fmac_f16_e32 v64, 0x388b, v37
	v_fma_f16 v117, v37, 0xbbc4, -v69
	v_fmac_f16_e32 v69, 0xbbc4, v37
	v_fma_f16 v119, v37, 0xb9fd, -v71
	v_fmamk_f16 v120, v38, 0xb9fd, v72
	v_fmac_f16_e32 v71, 0xb9fd, v37
	v_fma_f16 v72, v38, 0xb9fd, -v72
	v_fma_f16 v121, v37, 0x2fb7, -v73
	v_fmamk_f16 v122, v38, 0x2fb7, v74
	v_fmac_f16_e32 v73, 0x2fb7, v37
	v_fma_f16 v74, v38, 0x2fb7, -v74
	;; [unrolled: 4-line block ×3, first 2 shown]
	v_fma_f16 v38, v41, 0x2fb7, -v75
	v_fmamk_f16 v39, v42, 0x2fb7, v76
	v_fma_f16 v76, v42, 0x2fb7, -v76
	v_fmamk_f16 v126, v42, 0xbbc4, v78
	v_fma_f16 v78, v42, 0xbbc4, -v78
	v_fma_f16 v128, 0xb5ac, v42, v80
	v_fma_f16 v80, v42, 0xb5ac, -v80
	v_add_f16_e32 v48, v48, v4
	v_add_f16_e32 v55, v105, v4
	;; [unrolled: 1-line block ×20, first 2 shown]
	v_mul_f16_e32 v87, 0x394e, v50
	v_mul_f16_e32 v89, 0x3770, v50
	;; [unrolled: 1-line block ×12, first 2 shown]
	v_fmac_f16_e32 v75, 0x2fb7, v41
	v_fma_f16 v125, v41, 0xbbc4, -v77
	v_fmac_f16_e32 v77, 0xbbc4, v41
	v_fma_f16 v127, v41, 0xb5ac, -v79
	;; [unrolled: 2-line block ×3, first 2 shown]
	v_fma_f16 v130, 0x3b15, v42, v82
	v_fmac_f16_e32 v81, 0x3b15, v41
	v_fma_f16 v82, v42, 0x3b15, -v82
	v_fma_f16 v131, v41, 0x388b, -v83
	v_fma_f16 v132, 0x388b, v42, v84
	v_fmac_f16_e32 v83, 0x388b, v41
	v_fma_f16 v84, v42, 0x388b, -v84
	v_fma_f16 v133, v41, 0xb9fd, -v44
	;; [unrolled: 4-line block ×3, first 2 shown]
	v_fmamk_f16 v43, v46, 0xb5ac, v86
	v_fma_f16 v86, v46, 0xb5ac, -v86
	v_fma_f16 v136, 0xb9fd, v46, v88
	v_fma_f16 v88, v46, 0xb9fd, -v88
	v_fma_f16 v138, 0x3b15, v46, v90
	v_fma_f16 v90, v46, 0x3b15, -v90
	v_add_f16_e32 v106, v108, v26
	v_add_f16_e32 v108, v110, v26
	;; [unrolled: 1-line block ×21, first 2 shown]
	v_mul_f16_e32 v97, 0x3bf1, v54
	v_mul_f16_e32 v99, 0xba95, v54
	;; [unrolled: 1-line block ×4, first 2 shown]
	v_fmac_f16_e32 v85, 0xb5ac, v45
	v_fma_f16 v135, v45, 0xb9fd, -v87
	v_fmac_f16_e32 v87, 0xb9fd, v45
	v_fma_f16 v137, v45, 0x3b15, -v89
	;; [unrolled: 2-line block ×3, first 2 shown]
	v_fma_f16 v140, 0x2fb7, v46, v92
	v_fmac_f16_e32 v91, 0x2fb7, v45
	v_fma_f16 v92, v46, 0x2fb7, -v92
	v_fma_f16 v141, v45, 0xbbc4, -v93
	v_fma_f16 v142, 0xbbc4, v46, v94
	v_fmac_f16_e32 v93, 0xbbc4, v45
	v_fma_f16 v94, v46, 0xbbc4, -v94
	v_fma_f16 v143, v45, 0x388b, -v50
	;; [unrolled: 4-line block ×3, first 2 shown]
	v_fmamk_f16 v47, v52, 0xb9fd, v96
	v_fma_f16 v96, v52, 0xb9fd, -v96
	v_fma_f16 v146, 0x2fb7, v52, v98
	v_fma_f16 v98, v52, 0x2fb7, -v98
	v_fma_f16 v148, 0x388b, v52, v100
	v_fma_f16 v100, v52, 0x388b, -v100
	v_add_f16_e32 v49, v118, v106
	v_add_f16_e32 v58, v120, v108
	;; [unrolled: 1-line block ×13, first 2 shown]
	v_add_f16_e64 v34, v136, v34
	v_add_f16_e32 v36, v88, v36
	v_add_f16_e32 v40, v90, v40
	v_add_f16_e32 v15, v16, v15
	v_add_f16_e32 v23, v24, v23
	v_fmac_f16_e32 v95, 0xb9fd, v51
	v_fma_f16 v145, v51, 0x2fb7, -v97
	v_fmac_f16_e32 v97, 0x2fb7, v51
	v_fma_f16 v147, v51, 0x388b, -v99
	v_fma_f16 v149, v51, 0xbbc4, -v101
	v_fma_f16 v150, 0xbbc4, v52, v102
	v_fmac_f16_e32 v101, 0xbbc4, v51
	v_fma_f16 v102, v52, 0xbbc4, -v102
	v_add_f16_e64 v38, v128, v49
	v_add_f16_e64 v49, v130, v58
	v_add_f16_e32 v4, v44, v4
	v_add_f16_e32 v31, v85, v31
	v_add_f16_e64 v33, v135, v33
	v_add_f16_e32 v35, v87, v35
	v_add_f16_e64 v37, v137, v37
	v_add_f16_e32 v43, v91, v55
	v_add_f16_e32 v44, v92, v56
	;; [unrolled: 1-line block ×5, first 2 shown]
	v_add_f16_e64 v32, v146, v34
	v_add_f16_e32 v34, v98, v36
	v_add_f16_e32 v36, v100, v40
	v_add_f16_e32 v13, v15, v13
	v_add_f16_e32 v22, v23, v22
	v_sub_f16_e32 v40, v2, v9
	v_add_f16_e32 v26, v41, v26
	v_add_f16_e64 v42, v140, v49
	v_add_f16_e32 v29, v95, v31
	v_add_f16_e64 v31, v145, v33
	;; [unrolled: 2-line block ×3, first 2 shown]
	v_add_f16_e32 v37, v101, v43
	v_add_f16_e32 v12, v13, v12
	;; [unrolled: 1-line block ×4, first 2 shown]
	v_mul_f16_e32 v22, 0xbb7b, v53
	v_add_f16_e32 v43, v5, v10
	v_mul_f16_e32 v44, 0xb3a8, v40
	v_sub_f16_e32 v5, v5, v10
	v_add_f16_e32 v26, v45, v26
	v_add_f16_e64 v24, v150, v42
	v_fmamk_f16 v42, v52, 0xb5ac, v22
	v_fma_f16 v10, v52, 0xb5ac, -v22
	v_add_f16_e32 v9, v2, v9
	v_fma_f16 v2, v43, 0xbbc4, -v44
	v_mul_f16_e32 v22, 0xb3a8, v5
	v_add_f16_e32 v57, v119, v107
	v_add_f16_e32 v10, v10, v26
	v_fmac_f16_e32 v44, 0xbbc4, v43
	v_add_f16_e32 v26, v2, v27
	v_fmamk_f16 v2, v9, 0xbbc4, v22
	v_mul_f16_e32 v27, 0x3770, v40
	v_fma_f16 v22, v9, 0xbbc4, -v22
	v_mul_f16_e32 v45, 0x3770, v5
	v_add_f16_e64 v48, v129, v57
	v_add_f16_e32 v28, v2, v28
	v_fma_f16 v46, v43, 0x3b15, -v27
	v_add_f16_e32 v2, v44, v29
	v_add_f16_e32 v22, v22, v30
	v_fmamk_f16 v29, v9, 0x3b15, v45
	v_mul_f16_e32 v30, 0xb94e, v40
	v_fmac_f16_e32 v27, 0x3b15, v43
	v_fma_f16 v44, v9, 0x3b15, -v45
	v_add_f16_e32 v64, v122, v110
	v_add_f16_e64 v41, v139, v48
	v_add_f16_e32 v29, v29, v32
	v_fma_f16 v32, v43, 0xb9fd, -v30
	v_mul_f16_e32 v45, 0xb94e, v5
	v_add_f16_e32 v27, v27, v33
	v_add_f16_e32 v33, v44, v34
	v_mul_f16_e32 v34, 0x3a95, v40
	v_mul_f16_e32 v104, 0x3770, v53
	v_fmac_f16_e32 v99, 0x388b, v51
	v_add_f16_e32 v61, v121, v109
	v_add_f16_e32 v65, v123, v111
	v_add_f16_e64 v58, v132, v64
	v_add_f16_e32 v39, v89, v39
	v_add_f16_e64 v15, v149, v41
	v_add_f16_e32 v32, v32, v35
	v_fmamk_f16 v35, v9, 0xb9fd, v45
	v_fma_f16 v44, v9, 0xb9fd, -v45
	v_fma_f16 v45, v43, 0x388b, -v34
	v_add_f16_e64 v38, v138, v38
	v_mul_f16_e32 v103, 0x3770, v54
	v_mul_f16_e32 v54, 0xbb7b, v54
	v_fma_f16 v152, 0x3b15, v52, v104
	v_add_f16_e64 v57, v131, v61
	v_add_f16_e64 v61, v133, v65
	;; [unrolled: 1-line block ×3, first 2 shown]
	v_add_f16_e32 v25, v99, v39
	v_fmac_f16_e32 v30, 0xb9fd, v43
	v_add_f16_e32 v15, v45, v15
	v_fmac_f16_e32 v34, 0x388b, v43
	v_mul_f16_e32 v45, 0xbb7b, v5
	v_add_f16_e32 v62, v73, v62
	v_add_f16_e32 v66, v124, v112
	;; [unrolled: 1-line block ×3, first 2 shown]
	v_add_f16_e64 v16, v148, v38
	v_add_f16_e32 v31, v46, v31
	v_mul_f16_e32 v46, 0x3a95, v5
	v_add_f16_e64 v48, v141, v57
	v_add_f16_e64 v57, v143, v61
	;; [unrolled: 1-line block ×3, first 2 shown]
	v_add_f16_e32 v11, v12, v11
	v_fma_f16 v12, v51, 0xb5ac, -v54
	v_add_f16_e32 v25, v30, v25
	v_add_f16_e32 v30, v44, v36
	v_mul_f16_e32 v36, 0xbb7b, v40
	v_add_f16_e32 v34, v34, v37
	v_fmamk_f16 v37, v9, 0xb5ac, v45
	v_mul_f16_e32 v40, 0x3bf1, v40
	v_add_f16_e32 v59, v83, v62
	v_add_f16_e64 v62, v134, v66
	v_fma_f16 v151, v51, 0x3b15, -v103
	v_add_f16_e32 v60, v84, v63
	v_add_f16_e32 v16, v35, v16
	v_fmamk_f16 v35, v9, 0x388b, v46
	v_add_f16_e32 v12, v12, v57
	v_add_f16_e32 v37, v37, v38
	v_fma_f16 v38, v43, 0x2fb7, -v40
	v_mul_f16_e32 v5, 0x3bf1, v5
	v_add_f16_e64 v58, v144, v62
	v_add_f16_e32 v4, v50, v4
	v_fmac_f16_e32 v54, 0xb5ac, v51
	v_fmac_f16_e32 v103, 0x3b15, v51
	v_fma_f16 v104, v52, 0x3b15, -v104
	v_add_f16_e32 v55, v93, v59
	v_add_f16_e32 v56, v94, v60
	v_add_f16_e64 v23, v151, v48
	v_add_f16_e32 v24, v35, v24
	v_fma_f16 v35, v43, 0xb5ac, -v36
	v_add_f16_e32 v12, v38, v12
	v_fmamk_f16 v38, v9, 0x2fb7, v5
	v_fma_f16 v5, v9, 0x2fb7, -v5
	v_add_f16_e32 v42, v42, v58
	v_add_f16_e32 v4, v54, v4
	v_fmac_f16_e32 v40, 0x2fb7, v43
	v_add_f16_e32 v39, v103, v55
	v_add_f16_e32 v41, v104, v56
	v_fma_f16 v44, v9, 0x388b, -v46
	v_add_f16_e32 v23, v35, v23
	v_fmac_f16_e32 v36, 0xb5ac, v43
	v_fma_f16 v35, v9, 0xb5ac, -v45
	v_add_f16_e32 v5, v5, v10
	v_pack_b32_f16 v8, v17, v11
	v_pack_b32_f16 v10, v26, v28
	v_add_f16_e32 v9, v38, v42
	v_add_f16_e32 v4, v40, v4
	v_pack_b32_f16 v11, v31, v29
	v_pack_b32_f16 v16, v32, v16
	v_add_f16_e32 v13, v44, v13
	v_add_f16_e32 v36, v36, v39
	;; [unrolled: 1-line block ×3, first 2 shown]
	ds_store_2addr_b32 v7, v8, v10 offset1:17
	ds_store_2addr_b32 v7, v11, v16 offset0:34 offset1:51
	v_pack_b32_f16 v8, v15, v24
	v_pack_b32_f16 v10, v23, v37
	;; [unrolled: 1-line block ×9, first 2 shown]
	ds_store_2addr_b32 v7, v8, v10 offset0:68 offset1:85
	ds_store_2addr_b32 v7, v9, v4 offset0:102 offset1:119
	;; [unrolled: 1-line block ×4, first 2 shown]
	ds_store_b32 v7, v15 offset:816
	v_add_nc_u32_e32 v7, 0x200, v6
	v_add_nc_u32_e32 v16, 0x800, v6
	global_wb scope:SCOPE_SE
	s_wait_dscnt 0x0
	s_barrier_signal -1
	s_barrier_wait -1
	global_inv scope:SCOPE_SE
	ds_load_2addr_b32 v[4:5], v6 offset1:51
	ds_load_2addr_b32 v[8:9], v7 offset0:93 offset1:144
	ds_load_2addr_b32 v[10:11], v14 offset0:186 offset1:237
	;; [unrolled: 1-line block ×5, first 2 shown]
	s_and_saveexec_b32 s1, s0
	s_cbranch_execz .LBB0_15
; %bb.14:
	v_add_nc_u32_e32 v2, 0x300, v6
	ds_load_2addr_b32 v[2:3], v2 offset0:12 offset1:233
	ds_load_b32 v19, v6 offset:2584
	s_wait_dscnt 0x1
	v_lshrrev_b32_e32 v22, 16, v2
	v_lshrrev_b32_e32 v21, 16, v3
	s_wait_dscnt 0x0
	v_lshrrev_b32_e32 v20, 16, v19
.LBB0_15:
	s_wait_alu 0xfffe
	s_or_b32 exec_lo, exec_lo, s1
	s_and_saveexec_b32 s1, vcc_lo
	s_cbranch_execz .LBB0_18
; %bb.16:
	v_mad_co_u64_u32 v[31:32], null, s8, v18, 0
	v_add_nc_u32_e32 v49, 0x99, v18
	v_dual_mov_b32 v7, 0 :: v_dual_add_nc_u32 v46, 0x1ba, v18
	v_add_nc_u32_e32 v50, 0x66, v18
	v_add_nc_u32_e32 v48, 0x110, v18
	s_delay_alu instid0(VALU_DEP_4) | instskip(NEXT) | instid1(VALU_DEP_4)
	v_lshlrev_b32_e32 v6, 1, v49
	v_mad_co_u64_u32 v[35:36], null, s8, v46, 0
	v_add_nc_u32_e32 v45, 0xdd, v18
	s_delay_alu instid0(VALU_DEP_4) | instskip(NEXT) | instid1(VALU_DEP_4)
	v_mad_co_u64_u32 v[39:40], null, s8, v48, 0
	v_lshlrev_b64_e32 v[23:24], 2, v[6:7]
	v_lshlrev_b32_e32 v6, 1, v50
	s_delay_alu instid0(VALU_DEP_4) | instskip(SKIP_2) | instid1(VALU_DEP_4)
	v_mad_co_u64_u32 v[33:34], null, s8, v45, 0
	v_add_nc_u32_e32 v47, 51, v18
	v_mul_hi_u32 v52, 0x288b0129, v50
	v_lshlrev_b64_e32 v[25:26], 2, v[6:7]
	v_add_co_u32 v23, vcc_lo, s4, v23
	s_delay_alu instid0(VALU_DEP_4) | instskip(SKIP_2) | instid1(VALU_DEP_4)
	v_lshlrev_b32_e32 v6, 1, v47
	s_wait_alu 0xfffd
	v_add_co_ci_u32_e32 v24, vcc_lo, s5, v24, vcc_lo
	v_add_co_u32 v25, vcc_lo, s4, v25
	s_delay_alu instid0(VALU_DEP_3)
	v_lshlrev_b64_e32 v[27:28], 2, v[6:7]
	v_lshlrev_b32_e32 v6, 1, v18
	global_load_b64 v[23:24], v[23:24], off offset:816
	s_wait_alu 0xfffd
	v_add_co_ci_u32_e32 v26, vcc_lo, s5, v26, vcc_lo
	s_wait_dscnt 0x0
	v_lshrrev_b32_e32 v66, 16, v17
	v_lshlrev_b64_e32 v[29:30], 2, v[6:7]
	v_add_co_u32 v27, vcc_lo, s4, v27
	global_load_b64 v[25:26], v[25:26], off offset:816
	s_wait_alu 0xfffd
	v_add_co_ci_u32_e32 v28, vcc_lo, s5, v28, vcc_lo
	v_add_co_u32 v29, vcc_lo, s4, v29
	s_wait_alu 0xfffd
	v_add_co_ci_u32_e32 v30, vcc_lo, s5, v30, vcc_lo
	global_load_b64 v[27:28], v[27:28], off offset:816
	v_mov_b32_e32 v6, v32
	v_mul_hi_u32 v53, 0x288b0129, v49
	global_load_b64 v[29:30], v[29:30], off offset:816
	v_mov_b32_e32 v32, v36
	v_lshrrev_b32_e32 v67, 16, v15
	v_mad_co_u64_u32 v[43:44], null, s9, v18, v[6:7]
	v_mov_b32_e32 v6, v34
	v_mad_co_u64_u32 v[37:38], null, s8, v47, 0
	v_add_nc_u32_e32 v51, 0x1ed, v18
	v_lshrrev_b32_e32 v68, 16, v14
	s_delay_alu instid0(VALU_DEP_4)
	v_mad_co_u64_u32 v[44:45], null, s9, v45, v[6:7]
	v_mad_co_u64_u32 v[45:46], null, s9, v46, v[32:33]
	v_mov_b32_e32 v34, v38
	v_mad_co_u64_u32 v[41:42], null, s8, v51, 0
	v_mov_b32_e32 v32, v43
	v_lshrrev_b32_e32 v69, 16, v16
	s_delay_alu instid0(VALU_DEP_4)
	v_mad_co_u64_u32 v[46:47], null, s9, v47, v[34:35]
	v_add_co_u32 v0, vcc_lo, s10, v0
	v_mov_b32_e32 v38, v42
	v_sub_nc_u32_e32 v42, v49, v53
	v_lshrrev_b32_e32 v70, 16, v9
	v_lshrrev_b32_e32 v71, 16, v11
	s_wait_alu 0xfffd
	v_add_co_ci_u32_e32 v1, vcc_lo, s11, v1, vcc_lo
	v_lshrrev_b32_e32 v34, 1, v42
	v_mov_b32_e32 v36, v40
	v_sub_nc_u32_e32 v40, v50, v52
	v_lshrrev_b32_e32 v65, 16, v13
	v_lshrrev_b32_e32 v64, 16, v12
	;; [unrolled: 1-line block ×7, first 2 shown]
	s_delay_alu instid0(VALU_DEP_3) | instskip(NEXT) | instid1(VALU_DEP_1)
	v_add_nc_u32_e32 v6, v6, v52
	v_lshrrev_b32_e32 v6, 7, v6
	s_delay_alu instid0(VALU_DEP_1) | instskip(NEXT) | instid1(VALU_DEP_1)
	v_mad_u32_u24 v55, 0x1ba, v6, v50
	v_add_nc_u32_e32 v59, 0x1ba, v55
	v_mad_co_u64_u32 v[42:43], null, s9, v51, v[38:39]
	v_add_nc_u32_e32 v43, v34, v53
	v_mad_co_u64_u32 v[47:48], null, s9, v48, v[36:37]
	v_mov_b32_e32 v34, v44
	v_add_nc_u32_e32 v58, 0xdd, v55
	s_delay_alu instid0(VALU_DEP_4)
	v_lshrrev_b32_e32 v43, 7, v43
	v_mov_b32_e32 v36, v45
	v_mov_b32_e32 v38, v46
	v_lshlrev_b64_e32 v[33:34], 2, v[33:34]
	v_mov_b32_e32 v40, v47
	v_mad_u32_u24 v57, 0x1ba, v43, v49
	v_mad_co_u64_u32 v[43:44], null, s8, v55, 0
	v_mad_co_u64_u32 v[47:48], null, s8, v58, 0
	s_delay_alu instid0(VALU_DEP_3) | instskip(SKIP_3) | instid1(VALU_DEP_3)
	v_mad_co_u64_u32 v[45:46], null, s8, v57, 0
	v_add_nc_u32_e32 v60, 0xdd, v57
	v_mad_co_u64_u32 v[49:50], null, s8, v59, 0
	v_dual_mov_b32 v6, v44 :: v_dual_add_nc_u32 v61, 0x1ba, v57
	v_mad_co_u64_u32 v[51:52], null, s8, v60, 0
	v_mov_b32_e32 v44, v46
	s_delay_alu instid0(VALU_DEP_3)
	v_mad_co_u64_u32 v[55:56], null, s9, v55, v[6:7]
	v_mov_b32_e32 v6, v48
	v_mov_b32_e32 v46, v50
	v_mad_co_u64_u32 v[53:54], null, s8, v61, 0
	v_mad_co_u64_u32 v[56:57], null, s9, v57, v[44:45]
	v_mov_b32_e32 v44, v52
	v_mad_co_u64_u32 v[57:58], null, s9, v58, v[6:7]
	v_mad_co_u64_u32 v[58:59], null, s9, v59, v[46:47]
	s_delay_alu instid0(VALU_DEP_3)
	v_mad_co_u64_u32 v[59:60], null, s9, v60, v[44:45]
	v_mov_b32_e32 v48, v54
	v_mov_b32_e32 v44, v55
	;; [unrolled: 1-line block ×3, first 2 shown]
	v_lshlrev_b64_e32 v[31:32], 2, v[31:32]
	v_mov_b32_e32 v50, v58
	v_mad_co_u64_u32 v[60:61], null, s9, v61, v[48:49]
	v_mov_b32_e32 v48, v57
	v_mov_b32_e32 v52, v59
	v_lshlrev_b64_e32 v[35:36], 2, v[35:36]
	v_add_co_u32 v31, vcc_lo, v0, v31
	s_wait_alu 0xfffd
	v_add_co_ci_u32_e32 v32, vcc_lo, v1, v32, vcc_lo
	v_lshlrev_b64_e32 v[37:38], 2, v[37:38]
	v_add_co_u32 v33, vcc_lo, v0, v33
	s_wait_alu 0xfffd
	v_add_co_ci_u32_e32 v34, vcc_lo, v1, v34, vcc_lo
	v_mov_b32_e32 v54, v60
	v_lshlrev_b64_e32 v[39:40], 2, v[39:40]
	v_add_co_u32 v35, vcc_lo, v0, v35
	s_wait_alu 0xfffd
	v_add_co_ci_u32_e32 v36, vcc_lo, v1, v36, vcc_lo
	v_lshlrev_b64_e32 v[41:42], 2, v[41:42]
	v_add_co_u32 v37, vcc_lo, v0, v37
	s_wait_alu 0xfffd
	v_add_co_ci_u32_e32 v38, vcc_lo, v1, v38, vcc_lo
	v_add_co_u32 v39, vcc_lo, v0, v39
	v_lshlrev_b64_e32 v[43:44], 2, v[43:44]
	s_wait_alu 0xfffd
	v_add_co_ci_u32_e32 v40, vcc_lo, v1, v40, vcc_lo
	v_add_co_u32 v41, vcc_lo, v0, v41
	v_lshlrev_b64_e32 v[45:46], 2, v[45:46]
	s_wait_alu 0xfffd
	v_add_co_ci_u32_e32 v42, vcc_lo, v1, v42, vcc_lo
	v_lshlrev_b64_e32 v[47:48], 2, v[47:48]
	v_add_co_u32 v43, vcc_lo, v0, v43
	s_wait_alu 0xfffd
	v_add_co_ci_u32_e32 v44, vcc_lo, v1, v44, vcc_lo
	v_lshlrev_b64_e32 v[49:50], 2, v[49:50]
	v_add_co_u32 v45, vcc_lo, v0, v45
	;; [unrolled: 4-line block ×4, first 2 shown]
	s_wait_alu 0xfffd
	v_add_co_ci_u32_e32 v50, vcc_lo, v1, v50, vcc_lo
	v_add_co_u32 v51, vcc_lo, v0, v51
	s_wait_alu 0xfffd
	v_add_co_ci_u32_e32 v52, vcc_lo, v1, v52, vcc_lo
	v_add_co_u32 v53, vcc_lo, v0, v53
	s_wait_alu 0xfffd
	v_add_co_ci_u32_e32 v54, vcc_lo, v1, v54, vcc_lo
	s_wait_loadcnt 0x3
	v_lshrrev_b32_e32 v6, 16, v23
	v_lshrrev_b32_e32 v55, 16, v24
	s_delay_alu instid0(VALU_DEP_2) | instskip(NEXT) | instid1(VALU_DEP_2)
	v_mul_f16_e32 v56, v6, v67
	v_mul_f16_e32 v57, v66, v55
	;; [unrolled: 1-line block ×4, first 2 shown]
	s_wait_loadcnt 0x2
	v_lshrrev_b32_e32 v58, 16, v25
	v_lshrrev_b32_e32 v59, 16, v26
	v_fma_f16 v15, v23, v15, -v56
	v_fma_f16 v17, v17, v24, -v57
	v_fmac_f16_e32 v6, v23, v67
	v_fmac_f16_e32 v55, v66, v24
	v_mul_f16_e32 v23, v58, v68
	v_mul_f16_e32 v24, v59, v69
	;; [unrolled: 1-line block ×4, first 2 shown]
	s_wait_loadcnt 0x1
	v_lshrrev_b32_e32 v58, 16, v27
	v_lshrrev_b32_e32 v59, 16, v28
	v_add_f16_e32 v61, v6, v55
	v_add_f16_e32 v67, v15, v17
	v_fma_f16 v14, v25, v14, -v23
	v_fma_f16 v16, v26, v16, -v24
	v_fmac_f16_e32 v56, v25, v68
	v_fmac_f16_e32 v57, v26, v69
	v_mul_f16_e32 v23, v58, v70
	v_mul_f16_e32 v24, v59, v71
	v_mul_f16_e32 v25, v58, v9
	v_mul_f16_e32 v26, v59, v11
	s_wait_loadcnt 0x0
	v_lshrrev_b32_e32 v58, 16, v29
	v_lshrrev_b32_e32 v59, 16, v30
	v_sub_f16_e32 v60, v15, v17
	v_add_f16_e32 v66, v65, v6
	v_add_f16_e32 v15, v13, v15
	v_sub_f16_e32 v6, v6, v55
	v_fma_f16 v61, -0.5, v61, v65
	v_fma_f16 v13, -0.5, v67, v13
	v_add_f16_e32 v65, v56, v57
	v_sub_f16_e32 v67, v56, v57
	v_add_f16_e32 v56, v64, v56
	v_fma_f16 v9, v27, v9, -v23
	v_fma_f16 v11, v28, v11, -v24
	v_fmac_f16_e32 v25, v27, v70
	v_fmac_f16_e32 v26, v28, v71
	v_mul_f16_e32 v23, v58, v72
	v_mul_f16_e32 v24, v59, v73
	;; [unrolled: 1-line block ×4, first 2 shown]
	v_add_f16_e32 v55, v66, v55
	v_add_f16_e32 v15, v15, v17
	v_sub_f16_e32 v17, v14, v16
	v_add_f16_e32 v66, v14, v16
	v_add_f16_e32 v14, v12, v14
	v_fmamk_f16 v59, v6, 0xbaee, v13
	v_fmac_f16_e32 v13, 0x3aee, v6
	v_fma_f16 v6, -0.5, v65, v64
	v_add_f16_e32 v56, v56, v57
	v_add_f16_e32 v57, v25, v26
	v_sub_f16_e32 v64, v25, v26
	v_add_f16_e32 v25, v63, v25
	v_fma_f16 v8, v29, v8, -v23
	v_fma_f16 v10, v30, v10, -v24
	v_fmac_f16_e32 v27, v29, v72
	v_fmac_f16_e32 v28, v30, v73
	v_fmamk_f16 v58, v60, 0x3aee, v61
	v_fmac_f16_e32 v61, 0xbaee, v60
	v_add_f16_e32 v14, v14, v16
	v_sub_f16_e32 v16, v9, v11
	v_add_f16_e32 v60, v9, v11
	v_add_f16_e32 v9, v5, v9
	v_fmamk_f16 v23, v17, 0x3aee, v6
	v_fmac_f16_e32 v6, 0xbaee, v17
	v_fma_f16 v17, -0.5, v57, v63
	v_add_f16_e32 v25, v25, v26
	v_add_f16_e32 v26, v27, v28
	;; [unrolled: 1-line block ×4, first 2 shown]
	v_sub_f16_e32 v11, v8, v10
	v_sub_f16_e32 v30, v27, v28
	v_add_f16_e32 v27, v62, v27
	v_add_f16_e32 v8, v4, v8
	v_pack_b32_f16 v14, v14, v56
	v_fmamk_f16 v56, v16, 0x3aee, v17
	v_fmac_f16_e32 v17, 0xbaee, v16
	v_fma_f16 v16, -0.5, v26, v62
	v_fma_f16 v4, -0.5, v29, v4
	;; [unrolled: 1-line block ×4, first 2 shown]
	v_add_f16_e32 v26, v27, v28
	v_add_f16_e32 v8, v8, v10
	v_fmamk_f16 v10, v11, 0x3aee, v16
	v_fmamk_f16 v27, v30, 0xbaee, v4
	v_fmac_f16_e32 v16, 0xbaee, v11
	v_fmac_f16_e32 v4, 0x3aee, v30
	v_fmamk_f16 v57, v64, 0xbaee, v5
	v_fmac_f16_e32 v5, 0x3aee, v64
	v_fmamk_f16 v24, v67, 0xbaee, v12
	v_fmac_f16_e32 v12, 0x3aee, v67
	v_pack_b32_f16 v8, v8, v26
	v_pack_b32_f16 v4, v4, v16
	;; [unrolled: 1-line block ×11, first 2 shown]
	s_clause 0xb
	global_store_b32 v[31:32], v8, off
	global_store_b32 v[33:34], v4, off
	;; [unrolled: 1-line block ×12, first 2 shown]
	s_and_b32 exec_lo, exec_lo, s0
	s_cbranch_execz .LBB0_18
; %bb.17:
	v_add_nc_u32_e32 v12, 0xcc, v18
	v_subrev_nc_u32_e32 v4, 17, v18
	v_add_nc_u32_e32 v14, 0x1a9, v18
	v_add_nc_u32_e32 v15, 0x286, v18
	s_delay_alu instid0(VALU_DEP_3) | instskip(NEXT) | instid1(VALU_DEP_3)
	v_cndmask_b32_e64 v4, v4, v12, s0
	v_mad_co_u64_u32 v[8:9], null, s8, v14, 0
	s_delay_alu instid0(VALU_DEP_3) | instskip(NEXT) | instid1(VALU_DEP_3)
	v_mad_co_u64_u32 v[10:11], null, s8, v15, 0
	v_lshlrev_b32_e32 v6, 1, v4
	s_delay_alu instid0(VALU_DEP_1) | instskip(SKIP_1) | instid1(VALU_DEP_2)
	v_lshlrev_b64_e32 v[4:5], 2, v[6:7]
	v_mad_co_u64_u32 v[6:7], null, s8, v12, 0
	v_add_co_u32 v4, vcc_lo, s4, v4
	s_wait_alu 0xfffd
	s_delay_alu instid0(VALU_DEP_3) | instskip(NEXT) | instid1(VALU_DEP_3)
	v_add_co_ci_u32_e32 v5, vcc_lo, s5, v5, vcc_lo
	v_mad_co_u64_u32 v[12:13], null, s9, v12, v[7:8]
	v_mad_co_u64_u32 v[13:14], null, s9, v14, v[9:10]
	global_load_b64 v[4:5], v[4:5], off offset:816
	v_mov_b32_e32 v7, v12
	v_mad_co_u64_u32 v[14:15], null, s9, v15, v[11:12]
	v_mov_b32_e32 v9, v13
	s_delay_alu instid0(VALU_DEP_3) | instskip(NEXT) | instid1(VALU_DEP_2)
	v_lshlrev_b64_e32 v[6:7], 2, v[6:7]
	v_lshlrev_b64_e32 v[8:9], 2, v[8:9]
	s_delay_alu instid0(VALU_DEP_4) | instskip(NEXT) | instid1(VALU_DEP_3)
	v_mov_b32_e32 v11, v14
	v_add_co_u32 v6, vcc_lo, v0, v6
	s_wait_alu 0xfffd
	s_delay_alu instid0(VALU_DEP_4) | instskip(NEXT) | instid1(VALU_DEP_3)
	v_add_co_ci_u32_e32 v7, vcc_lo, v1, v7, vcc_lo
	v_lshlrev_b64_e32 v[10:11], 2, v[10:11]
	s_wait_loadcnt 0x0
	v_lshrrev_b32_e32 v12, 16, v4
	v_lshrrev_b32_e32 v13, 16, v5
	s_delay_alu instid0(VALU_DEP_2) | instskip(SKIP_1) | instid1(VALU_DEP_3)
	v_mul_f16_e32 v14, v21, v12
	v_mul_f16_e32 v12, v3, v12
	;; [unrolled: 1-line block ×4, first 2 shown]
	s_delay_alu instid0(VALU_DEP_4) | instskip(NEXT) | instid1(VALU_DEP_4)
	v_fma_f16 v14, v3, v4, -v14
	v_fmac_f16_e32 v12, v21, v4
	s_delay_alu instid0(VALU_DEP_4) | instskip(NEXT) | instid1(VALU_DEP_4)
	v_fma_f16 v15, v19, v5, -v15
	v_fmac_f16_e32 v13, v20, v5
	v_add_co_u32 v3, vcc_lo, v0, v8
	s_wait_alu 0xfffd
	v_add_co_ci_u32_e32 v4, vcc_lo, v1, v9, vcc_lo
	v_add_f16_e32 v5, v14, v15
	v_add_f16_e32 v9, v12, v13
	;; [unrolled: 1-line block ×3, first 2 shown]
	v_sub_f16_e32 v16, v12, v13
	v_add_f16_e32 v12, v22, v12
	v_fmac_f16_e32 v2, -0.5, v5
	v_sub_f16_e32 v5, v14, v15
	v_fmac_f16_e32 v22, -0.5, v9
	v_add_f16_e32 v8, v8, v15
	v_add_f16_e32 v9, v12, v13
	v_fmamk_f16 v12, v16, 0x3aee, v2
	v_fmac_f16_e32 v2, 0xbaee, v16
	v_fmamk_f16 v13, v5, 0xbaee, v22
	v_fmac_f16_e32 v22, 0x3aee, v5
	v_add_co_u32 v0, vcc_lo, v0, v10
	v_pack_b32_f16 v5, v8, v9
	s_delay_alu instid0(VALU_DEP_4)
	v_pack_b32_f16 v8, v12, v13
	s_wait_alu 0xfffd
	v_add_co_ci_u32_e32 v1, vcc_lo, v1, v11, vcc_lo
	v_pack_b32_f16 v2, v2, v22
	s_clause 0x2
	global_store_b32 v[6:7], v5, off
	global_store_b32 v[3:4], v8, off
	global_store_b32 v[0:1], v2, off
.LBB0_18:
	s_nop 0
	s_sendmsg sendmsg(MSG_DEALLOC_VGPRS)
	s_endpgm
	.section	.rodata,"a",@progbits
	.p2align	6, 0x0
	.amdhsa_kernel fft_rtc_fwd_len663_factors_17_13_3_wgs_51_tpt_51_half_ip_CI_sbrr_dirReg
		.amdhsa_group_segment_fixed_size 0
		.amdhsa_private_segment_fixed_size 0
		.amdhsa_kernarg_size 88
		.amdhsa_user_sgpr_count 2
		.amdhsa_user_sgpr_dispatch_ptr 0
		.amdhsa_user_sgpr_queue_ptr 0
		.amdhsa_user_sgpr_kernarg_segment_ptr 1
		.amdhsa_user_sgpr_dispatch_id 0
		.amdhsa_user_sgpr_private_segment_size 0
		.amdhsa_wavefront_size32 1
		.amdhsa_uses_dynamic_stack 0
		.amdhsa_enable_private_segment 0
		.amdhsa_system_sgpr_workgroup_id_x 1
		.amdhsa_system_sgpr_workgroup_id_y 0
		.amdhsa_system_sgpr_workgroup_id_z 0
		.amdhsa_system_sgpr_workgroup_info 0
		.amdhsa_system_vgpr_workitem_id 0
		.amdhsa_next_free_vgpr 182
		.amdhsa_next_free_sgpr 35
		.amdhsa_reserve_vcc 1
		.amdhsa_float_round_mode_32 0
		.amdhsa_float_round_mode_16_64 0
		.amdhsa_float_denorm_mode_32 3
		.amdhsa_float_denorm_mode_16_64 3
		.amdhsa_fp16_overflow 0
		.amdhsa_workgroup_processor_mode 1
		.amdhsa_memory_ordered 1
		.amdhsa_forward_progress 0
		.amdhsa_round_robin_scheduling 0
		.amdhsa_exception_fp_ieee_invalid_op 0
		.amdhsa_exception_fp_denorm_src 0
		.amdhsa_exception_fp_ieee_div_zero 0
		.amdhsa_exception_fp_ieee_overflow 0
		.amdhsa_exception_fp_ieee_underflow 0
		.amdhsa_exception_fp_ieee_inexact 0
		.amdhsa_exception_int_div_zero 0
	.end_amdhsa_kernel
	.text
.Lfunc_end0:
	.size	fft_rtc_fwd_len663_factors_17_13_3_wgs_51_tpt_51_half_ip_CI_sbrr_dirReg, .Lfunc_end0-fft_rtc_fwd_len663_factors_17_13_3_wgs_51_tpt_51_half_ip_CI_sbrr_dirReg
                                        ; -- End function
	.section	.AMDGPU.csdata,"",@progbits
; Kernel info:
; codeLenInByte = 14948
; NumSgprs: 37
; NumVgprs: 182
; ScratchSize: 0
; MemoryBound: 0
; FloatMode: 240
; IeeeMode: 1
; LDSByteSize: 0 bytes/workgroup (compile time only)
; SGPRBlocks: 4
; VGPRBlocks: 22
; NumSGPRsForWavesPerEU: 37
; NumVGPRsForWavesPerEU: 182
; Occupancy: 8
; WaveLimiterHint : 1
; COMPUTE_PGM_RSRC2:SCRATCH_EN: 0
; COMPUTE_PGM_RSRC2:USER_SGPR: 2
; COMPUTE_PGM_RSRC2:TRAP_HANDLER: 0
; COMPUTE_PGM_RSRC2:TGID_X_EN: 1
; COMPUTE_PGM_RSRC2:TGID_Y_EN: 0
; COMPUTE_PGM_RSRC2:TGID_Z_EN: 0
; COMPUTE_PGM_RSRC2:TIDIG_COMP_CNT: 0
	.text
	.p2alignl 7, 3214868480
	.fill 96, 4, 3214868480
	.type	__hip_cuid_9c7e7f033dcbef64,@object ; @__hip_cuid_9c7e7f033dcbef64
	.section	.bss,"aw",@nobits
	.globl	__hip_cuid_9c7e7f033dcbef64
__hip_cuid_9c7e7f033dcbef64:
	.byte	0                               ; 0x0
	.size	__hip_cuid_9c7e7f033dcbef64, 1

	.ident	"AMD clang version 19.0.0git (https://github.com/RadeonOpenCompute/llvm-project roc-6.4.0 25133 c7fe45cf4b819c5991fe208aaa96edf142730f1d)"
	.section	".note.GNU-stack","",@progbits
	.addrsig
	.addrsig_sym __hip_cuid_9c7e7f033dcbef64
	.amdgpu_metadata
---
amdhsa.kernels:
  - .args:
      - .actual_access:  read_only
        .address_space:  global
        .offset:         0
        .size:           8
        .value_kind:     global_buffer
      - .offset:         8
        .size:           8
        .value_kind:     by_value
      - .actual_access:  read_only
        .address_space:  global
        .offset:         16
        .size:           8
        .value_kind:     global_buffer
      - .actual_access:  read_only
        .address_space:  global
        .offset:         24
        .size:           8
        .value_kind:     global_buffer
      - .offset:         32
        .size:           8
        .value_kind:     by_value
      - .actual_access:  read_only
        .address_space:  global
        .offset:         40
        .size:           8
        .value_kind:     global_buffer
      - .actual_access:  read_only
        .address_space:  global
        .offset:         48
        .size:           8
        .value_kind:     global_buffer
      - .offset:         56
        .size:           4
        .value_kind:     by_value
      - .actual_access:  read_only
        .address_space:  global
        .offset:         64
        .size:           8
        .value_kind:     global_buffer
      - .actual_access:  read_only
        .address_space:  global
        .offset:         72
        .size:           8
        .value_kind:     global_buffer
      - .address_space:  global
        .offset:         80
        .size:           8
        .value_kind:     global_buffer
    .group_segment_fixed_size: 0
    .kernarg_segment_align: 8
    .kernarg_segment_size: 88
    .language:       OpenCL C
    .language_version:
      - 2
      - 0
    .max_flat_workgroup_size: 51
    .name:           fft_rtc_fwd_len663_factors_17_13_3_wgs_51_tpt_51_half_ip_CI_sbrr_dirReg
    .private_segment_fixed_size: 0
    .sgpr_count:     37
    .sgpr_spill_count: 0
    .symbol:         fft_rtc_fwd_len663_factors_17_13_3_wgs_51_tpt_51_half_ip_CI_sbrr_dirReg.kd
    .uniform_work_group_size: 1
    .uses_dynamic_stack: false
    .vgpr_count:     182
    .vgpr_spill_count: 0
    .wavefront_size: 32
    .workgroup_processor_mode: 1
amdhsa.target:   amdgcn-amd-amdhsa--gfx1201
amdhsa.version:
  - 1
  - 2
...

	.end_amdgpu_metadata
